;; amdgpu-corpus repo=ROCm/rocFFT kind=compiled arch=gfx1201 opt=O3
	.text
	.amdgcn_target "amdgcn-amd-amdhsa--gfx1201"
	.amdhsa_code_object_version 6
	.protected	bluestein_single_back_len1936_dim1_half_op_CI_CI ; -- Begin function bluestein_single_back_len1936_dim1_half_op_CI_CI
	.globl	bluestein_single_back_len1936_dim1_half_op_CI_CI
	.p2align	8
	.type	bluestein_single_back_len1936_dim1_half_op_CI_CI,@function
bluestein_single_back_len1936_dim1_half_op_CI_CI: ; @bluestein_single_back_len1936_dim1_half_op_CI_CI
; %bb.0:
	s_load_b128 s[8:11], s[0:1], 0x28
	v_mul_u32_u24_e32 v1, 0x175, v0
	s_mov_b32 s2, exec_lo
	v_mov_b32_e32 v22, 0
	s_delay_alu instid0(VALU_DEP_2) | instskip(NEXT) | instid1(VALU_DEP_1)
	v_lshrrev_b32_e32 v1, 16, v1
	v_add_nc_u32_e32 v21, ttmp9, v1
	s_wait_kmcnt 0x0
	s_delay_alu instid0(VALU_DEP_1)
	v_cmpx_gt_u64_e64 s[8:9], v[21:22]
	s_cbranch_execz .LBB0_31
; %bb.1:
	s_clause 0x1
	s_load_b128 s[4:7], s[0:1], 0x18
	s_load_b64 s[16:17], s[0:1], 0x0
	v_mul_lo_u16 v1, 0xb0, v1
	s_movk_i32 s2, 0xfce8
	s_mov_b32 s3, -1
	s_delay_alu instid0(VALU_DEP_1) | instskip(NEXT) | instid1(VALU_DEP_1)
	v_sub_nc_u16 v7, v0, v1
	v_and_b32_e32 v48, 0xffff, v7
	s_wait_kmcnt 0x0
	s_load_b128 s[12:15], s[4:5], 0x0
	s_wait_kmcnt 0x0
	v_mad_co_u64_u32 v[0:1], null, s14, v21, 0
	v_mad_co_u64_u32 v[2:3], null, s12, v48, 0
	s_mul_u64 s[4:5], s[12:13], 0x3c8
	s_mul_u64 s[2:3], s[12:13], s[2:3]
	s_delay_alu instid0(SALU_CYCLE_1) | instskip(NEXT) | instid1(VALU_DEP_1)
	s_lshl_b64 s[2:3], s[2:3], 2
	v_mad_co_u64_u32 v[4:5], null, s15, v21, v[1:2]
	s_delay_alu instid0(VALU_DEP_1) | instskip(NEXT) | instid1(VALU_DEP_3)
	v_mov_b32_e32 v1, v4
	v_mad_co_u64_u32 v[5:6], null, s13, v48, v[3:4]
	v_lshlrev_b32_e32 v34, 2, v48
	s_delay_alu instid0(VALU_DEP_3) | instskip(NEXT) | instid1(VALU_DEP_3)
	v_lshlrev_b64_e32 v[0:1], 2, v[0:1]
	v_mov_b32_e32 v3, v5
	s_clause 0x2
	global_load_b32 v51, v34, s[16:17] offset:3872
	global_load_b32 v47, v34, s[16:17] offset:4576
	;; [unrolled: 1-line block ×3, first 2 shown]
	v_add_co_u32 v0, vcc_lo, s10, v0
	v_add_co_ci_u32_e32 v1, vcc_lo, s11, v1, vcc_lo
	v_lshlrev_b64_e32 v[2:3], 2, v[2:3]
	s_lshl_b64 s[10:11], s[4:5], 2
	s_clause 0x6
	global_load_b32 v54, v34, s[16:17]
	global_load_b32 v50, v34, s[16:17] offset:704
	global_load_b32 v45, v34, s[16:17] offset:1408
	;; [unrolled: 1-line block ×6, first 2 shown]
	v_add_co_u32 v19, s12, s16, v34
	v_add_co_u32 v0, vcc_lo, v0, v2
	s_wait_alu 0xfffd
	v_add_co_ci_u32_e32 v1, vcc_lo, v1, v3, vcc_lo
	s_wait_alu 0xf1ff
	v_add_co_ci_u32_e64 v20, null, s17, 0, s12
	s_wait_alu 0xfffe
	v_add_co_u32 v2, vcc_lo, v0, s10
	s_wait_alu 0xfffd
	v_add_co_ci_u32_e32 v3, vcc_lo, s11, v1, vcc_lo
	global_load_b32 v4, v[0:1], off
	v_add_nc_u32_e32 v14, 0x1100, v34
	global_load_b32 v5, v[2:3], off
	v_add_co_u32 v0, vcc_lo, v2, s2
	s_wait_alu 0xfffd
	v_add_co_ci_u32_e32 v1, vcc_lo, s3, v3, vcc_lo
	s_delay_alu instid0(VALU_DEP_2) | instskip(SKIP_1) | instid1(VALU_DEP_2)
	v_add_co_u32 v2, vcc_lo, v0, s10
	s_wait_alu 0xfffd
	v_add_co_ci_u32_e32 v3, vcc_lo, s11, v1, vcc_lo
	global_load_b32 v6, v[0:1], off
	v_add_co_u32 v0, vcc_lo, v2, s2
	s_wait_alu 0xfffd
	v_add_co_ci_u32_e32 v1, vcc_lo, s3, v3, vcc_lo
	s_clause 0x1
	global_load_b32 v8, v[2:3], off
	global_load_b32 v9, v[0:1], off
	v_add_co_u32 v0, vcc_lo, v0, s10
	s_wait_alu 0xfffd
	v_add_co_ci_u32_e32 v1, vcc_lo, s11, v1, vcc_lo
	s_delay_alu instid0(VALU_DEP_2) | instskip(SKIP_1) | instid1(VALU_DEP_2)
	v_add_co_u32 v2, vcc_lo, v0, s2
	s_wait_alu 0xfffd
	v_add_co_ci_u32_e32 v3, vcc_lo, s3, v1, vcc_lo
	global_load_b32 v10, v[0:1], off
	v_add_co_u32 v0, vcc_lo, v2, s10
	s_wait_alu 0xfffd
	v_add_co_ci_u32_e32 v1, vcc_lo, s11, v3, vcc_lo
	global_load_b32 v11, v[2:3], off
	;; [unrolled: 4-line block ×4, first 2 shown]
	global_load_b32 v13, v[0:1], off
	s_load_b64 s[8:9], s[0:1], 0x38
	s_load_b128 s[4:7], s[6:7], 0x0
	v_add_nc_u32_e32 v2, 0x500, v34
	v_cmp_gt_u16_e32 vcc_lo, 0x58, v7
	s_wait_loadcnt 0x13
	v_lshrrev_b32_e32 v53, 16, v51
	s_wait_loadcnt 0x12
	v_lshrrev_b32_e32 v49, 16, v47
	;; [unrolled: 2-line block ×11, first 2 shown]
	v_mul_f16_e32 v16, v55, v4
	s_wait_loadcnt 0x8
	v_lshrrev_b32_e32 v18, 16, v5
	v_mul_f16_e32 v22, v53, v5
	v_mul_f16_e32 v17, v55, v15
	v_fma_f16 v15, v54, v15, -v16
	s_delay_alu instid0(VALU_DEP_2)
	v_fmac_f16_e32 v17, v54, v4
	v_mul_f16_e32 v4, v53, v18
	v_fma_f16 v18, v51, v18, -v22
	s_wait_loadcnt 0x7
	v_lshrrev_b32_e32 v16, 16, v6
	v_mul_f16_e32 v22, v52, v6
	v_pack_b32_f16 v15, v17, v15
	v_fmac_f16_e32 v4, v51, v5
	s_delay_alu instid0(VALU_DEP_4)
	v_mul_f16_e32 v5, v52, v16
	s_wait_loadcnt 0x6
	v_lshrrev_b32_e32 v17, 16, v8
	v_mul_f16_e32 v23, v49, v8
	v_fma_f16 v16, v50, v16, -v22
	v_pack_b32_f16 v4, v4, v18
	v_fmac_f16_e32 v5, v50, v6
	v_mul_f16_e32 v6, v49, v17
	s_wait_loadcnt 0x5
	v_lshrrev_b32_e32 v18, 16, v9
	v_fma_f16 v17, v47, v17, -v23
	v_mul_f16_e32 v22, v46, v9
	ds_store_b32 v34, v4 offset:3872
	v_pack_b32_f16 v4, v5, v16
	v_fmac_f16_e32 v6, v47, v8
	v_mul_f16_e32 v5, v46, v18
	v_fma_f16 v8, v45, v18, -v22
	s_wait_loadcnt 0x4
	v_lshrrev_b32_e32 v16, 16, v10
	v_mul_f16_e32 v18, v44, v10
	ds_store_2addr_b32 v34, v15, v4 offset1:176
	v_pack_b32_f16 v4, v6, v17
	v_fmac_f16_e32 v5, v45, v9
	s_wait_loadcnt 0x3
	v_lshrrev_b32_e32 v6, 16, v11
	v_mul_f16_e32 v9, v44, v16
	v_fma_f16 v15, v43, v16, -v18
	v_mul_f16_e32 v16, v42, v11
	v_pack_b32_f16 v5, v5, v8
	v_mul_f16_e32 v8, v42, v6
	v_fmac_f16_e32 v9, v43, v10
	s_wait_loadcnt 0x2
	v_lshrrev_b32_e32 v10, 16, v12
	v_fma_f16 v6, v41, v6, -v16
	v_mul_f16_e32 v16, v40, v12
	v_fmac_f16_e32 v8, v41, v11
	s_wait_loadcnt 0x1
	v_lshrrev_b32_e32 v11, 16, v3
	s_wait_loadcnt 0x0
	v_lshrrev_b32_e32 v18, 16, v13
	v_mul_f16_e32 v17, v40, v10
	v_fma_f16 v10, v39, v10, -v16
	v_mul_f16_e32 v16, v38, v3
	v_mul_f16_e32 v22, v38, v11
	;; [unrolled: 1-line block ×4, first 2 shown]
	v_fmac_f16_e32 v17, v39, v12
	v_fma_f16 v11, v37, v11, -v16
	v_fmac_f16_e32 v22, v37, v3
	v_fma_f16 v3, v35, v18, -v23
	v_fmac_f16_e32 v24, v35, v13
	v_pack_b32_f16 v9, v9, v15
	v_pack_b32_f16 v6, v8, v6
	;; [unrolled: 1-line block ×5, first 2 shown]
	v_add_nc_u32_e32 v11, 0x1700, v34
	ds_store_2addr_b32 v14, v4, v9 offset0:56 offset1:232
	ds_store_2addr_b32 v2, v5, v6 offset0:32 offset1:208
	ds_store_b32 v34, v10 offset:2816
	ds_store_2addr_b32 v11, v8, v3 offset0:24 offset1:200
	s_and_saveexec_b32 s12, vcc_lo
	s_cbranch_execz .LBB0_3
; %bb.2:
	v_add_co_u32 v0, s2, v0, s2
	s_wait_alu 0xf1ff
	v_add_co_ci_u32_e64 v1, s2, s3, v1, s2
	s_delay_alu instid0(VALU_DEP_2) | instskip(SKIP_1) | instid1(VALU_DEP_2)
	v_add_co_u32 v3, s2, v0, s10
	s_wait_alu 0xf1ff
	v_add_co_ci_u32_e64 v4, s2, s11, v1, s2
	s_clause 0x1
	global_load_b32 v5, v[19:20], off offset:3520
	global_load_b32 v6, v[19:20], off offset:7392
	global_load_b32 v0, v[0:1], off
	global_load_b32 v1, v[3:4], off
	s_wait_loadcnt 0x3
	v_lshrrev_b32_e32 v3, 16, v5
	s_wait_loadcnt 0x2
	v_lshrrev_b32_e32 v4, 16, v6
	;; [unrolled: 2-line block ×4, first 2 shown]
	v_mul_f16_e32 v9, v3, v0
	s_delay_alu instid0(VALU_DEP_3) | instskip(NEXT) | instid1(VALU_DEP_3)
	v_mul_f16_e32 v3, v3, v7
	v_mul_f16_e32 v10, v4, v8
	;; [unrolled: 1-line block ×3, first 2 shown]
	s_delay_alu instid0(VALU_DEP_4) | instskip(NEXT) | instid1(VALU_DEP_4)
	v_fma_f16 v7, v5, v7, -v9
	v_fmac_f16_e32 v3, v5, v0
	s_delay_alu instid0(VALU_DEP_4) | instskip(NEXT) | instid1(VALU_DEP_4)
	v_fmac_f16_e32 v10, v6, v1
	v_fma_f16 v0, v6, v8, -v4
	s_delay_alu instid0(VALU_DEP_3) | instskip(NEXT) | instid1(VALU_DEP_2)
	v_pack_b32_f16 v1, v3, v7
	v_pack_b32_f16 v0, v10, v0
	ds_store_b32 v34, v1 offset:3520
	ds_store_b32 v34, v0 offset:7392
.LBB0_3:
	s_wait_alu 0xfffe
	s_or_b32 exec_lo, exec_lo, s12
	v_add_nc_u32_e32 v0, 0xe00, v34
	v_add_nc_u32_e32 v1, 0x1400, v34
	global_wb scope:SCOPE_SE
	s_wait_dscnt 0x0
	s_wait_kmcnt 0x0
	s_barrier_signal -1
	s_barrier_wait -1
	global_inv scope:SCOPE_SE
	ds_load_2addr_b32 v[4:5], v34 offset1:176
	ds_load_2addr_b32 v[6:7], v0 offset0:72 offset1:248
	ds_load_2addr_b32 v[2:3], v2 offset0:32 offset1:208
	;; [unrolled: 1-line block ×3, first 2 shown]
	ds_load_b32 v16, v34 offset:2816
	ds_load_b32 v0, v34 offset:6688
                                        ; implicit-def: $vgpr14
                                        ; implicit-def: $vgpr1
	s_and_saveexec_b32 s2, vcc_lo
	s_cbranch_execz .LBB0_5
; %bb.4:
	ds_load_b32 v14, v34 offset:3520
	ds_load_b32 v1, v34 offset:7392
.LBB0_5:
	s_wait_alu 0xfffe
	s_or_b32 exec_lo, exec_lo, s2
	s_load_b64 s[2:3], s[0:1], 0x8
	v_lshlrev_b32_e32 v12, 1, v48
	s_wait_dscnt 0x2
	v_pk_add_f16 v8, v2, v8 neg_lo:[0,1] neg_hi:[0,1]
	v_add_co_u32 v11, null, 0xb0, v48
	v_add_co_u32 v10, null, 0x160, v48
	;; [unrolled: 1-line block ×3, first 2 shown]
	v_pk_add_f16 v18, v4, v6 neg_lo:[0,1] neg_hi:[0,1]
	s_wait_dscnt 0x0
	v_pk_add_f16 v1, v14, v1 neg_lo:[0,1] neg_hi:[0,1]
	v_pk_add_f16 v6, v5, v7 neg_lo:[0,1] neg_hi:[0,1]
	;; [unrolled: 1-line block ×4, first 2 shown]
	v_pk_fma_f16 v7, v2, 2.0, v8 op_sel_hi:[1,0,1] neg_lo:[0,0,1] neg_hi:[0,0,1]
	v_lshlrev_b32_e32 v2, 2, v12
	v_pk_fma_f16 v0, v14, 2.0, v1 op_sel_hi:[1,0,1] neg_lo:[0,0,1] neg_hi:[0,0,1]
	v_lshlrev_b32_e32 v59, 3, v48
	;; [unrolled: 2-line block ×3, first 2 shown]
	v_lshlrev_b32_e32 v60, 3, v11
	v_lshlrev_b32_e32 v15, 1, v10
	;; [unrolled: 1-line block ×3, first 2 shown]
	v_add_nc_u32_e32 v71, 0x420, v12
	v_add_nc_u32_e32 v72, 0x580, v12
	v_lshlrev_b32_e32 v63, 3, v13
	v_pk_fma_f16 v5, v5, 2.0, v6 op_sel_hi:[1,0,1] neg_lo:[0,0,1] neg_hi:[0,0,1]
	v_pk_fma_f16 v22, v3, 2.0, v23 op_sel_hi:[1,0,1] neg_lo:[0,0,1] neg_hi:[0,0,1]
	v_pk_fma_f16 v24, v16, 2.0, v25 op_sel_hi:[1,0,1] neg_lo:[0,0,1] neg_hi:[0,0,1]
	v_add_nc_u32_e32 v2, 0x1000, v2
	global_wb scope:SCOPE_SE
	s_wait_kmcnt 0x0
	s_barrier_signal -1
	s_barrier_wait -1
	global_inv scope:SCOPE_SE
	ds_store_b64 v59, v[17:18]
	ds_store_b64 v60, v[5:6]
	;; [unrolled: 1-line block ×3, first 2 shown]
	ds_store_2addr_b64 v2, v[22:23], v[24:25] offset0:16 offset1:192
	s_and_saveexec_b32 s0, vcc_lo
	s_cbranch_execz .LBB0_7
; %bb.6:
	ds_store_b64 v63, v[0:1]
.LBB0_7:
	s_wait_alu 0xfffe
	s_or_b32 exec_lo, exec_lo, s0
	v_add_nc_u32_e32 v2, 0xe00, v34
	v_add_nc_u32_e32 v3, 0x500, v34
	;; [unrolled: 1-line block ×3, first 2 shown]
	global_wb scope:SCOPE_SE
	s_wait_dscnt 0x0
	s_barrier_signal -1
	s_barrier_wait -1
	global_inv scope:SCOPE_SE
	ds_load_2addr_b32 v[4:5], v34 offset1:176
	ds_load_2addr_b32 v[8:9], v2 offset0:72 offset1:248
	ds_load_2addr_b32 v[2:3], v3 offset0:32 offset1:208
	;; [unrolled: 1-line block ×3, first 2 shown]
	ds_load_b32 v16, v34 offset:2816
	ds_load_b32 v17, v34 offset:6688
	s_and_saveexec_b32 s0, vcc_lo
	s_cbranch_execz .LBB0_9
; %bb.8:
	ds_load_b32 v0, v34 offset:3520
	ds_load_b32 v1, v34 offset:7392
.LBB0_9:
	s_wait_alu 0xfffe
	s_or_b32 exec_lo, exec_lo, s0
	v_and_b32_e32 v56, 1, v48
	s_wait_dscnt 0x4
	v_lshrrev_b32_e32 v22, 16, v8
	v_lshlrev_b32_e32 v61, 1, v13
	v_lshrrev_b32_e32 v24, 16, v9
	s_wait_dscnt 0x2
	v_lshrrev_b32_e32 v26, 16, v6
	v_lshlrev_b32_e32 v18, 2, v56
	v_and_or_b32 v12, 0x1fc, v12, v56
	v_and_or_b32 v13, 0x3fc, v14, v56
	;; [unrolled: 1-line block ×4, first 2 shown]
	global_load_b32 v58, v18, s[2:3]
	v_and_or_b32 v33, 0x7fc, v72, v56
	v_lshrrev_b32_e32 v28, 16, v7
	s_wait_dscnt 0x0
	v_lshrrev_b32_e32 v30, 16, v17
	v_lshrrev_b32_e32 v31, 16, v1
	v_lshlrev_b32_e32 v64, 2, v12
	v_lshlrev_b32_e32 v65, 2, v13
	;; [unrolled: 1-line block ×5, first 2 shown]
	v_lshrrev_b32_e32 v18, 16, v4
	v_lshrrev_b32_e32 v23, 16, v5
	;; [unrolled: 1-line block ×6, first 2 shown]
	global_wb scope:SCOPE_SE
	s_wait_loadcnt 0x0
	s_barrier_signal -1
	s_barrier_wait -1
	global_inv scope:SCOPE_SE
	v_lshrrev_b32_e32 v70, 16, v58
	s_delay_alu instid0(VALU_DEP_1)
	v_mul_f16_e32 v12, v22, v70
	v_mul_f16_e32 v13, v8, v70
	;; [unrolled: 1-line block ×12, first 2 shown]
	v_fma_f16 v8, v8, v58, -v12
	v_fmac_f16_e32 v13, v22, v58
	v_fma_f16 v9, v9, v58, -v14
	v_fmac_f16_e32 v15, v24, v58
	;; [unrolled: 2-line block ×6, first 2 shown]
	v_sub_f16_e32 v17, v4, v8
	v_sub_f16_e32 v24, v18, v13
	;; [unrolled: 1-line block ×12, first 2 shown]
	v_fma_f16 v1, v4, 2.0, -v17
	v_fma_f16 v4, v18, 2.0, -v24
	;; [unrolled: 1-line block ×12, first 2 shown]
	v_pack_b32_f16 v0, v17, v24
	v_pack_b32_f16 v1, v1, v4
	;; [unrolled: 1-line block ×10, first 2 shown]
	ds_store_2addr_b32 v64, v1, v0 offset1:2
	ds_store_2addr_b32 v65, v4, v16 offset1:2
	;; [unrolled: 1-line block ×5, first 2 shown]
	s_and_saveexec_b32 s0, vcc_lo
	s_cbranch_execz .LBB0_11
; %bb.10:
	v_and_or_b32 v0, 0x7fc, v61, v56
	v_perm_b32 v1, v23, v22, 0x5040100
	v_perm_b32 v2, v15, v13, 0x5040100
	s_delay_alu instid0(VALU_DEP_3)
	v_lshlrev_b32_e32 v0, 2, v0
	ds_store_2addr_b32 v0, v1, v2 offset1:2
.LBB0_11:
	s_wait_alu 0xfffe
	s_or_b32 exec_lo, exec_lo, s0
	v_add_nc_u32_e32 v2, 0x700, v34
	v_add_nc_u32_e32 v3, 0xe00, v34
	;; [unrolled: 1-line block ×3, first 2 shown]
	global_wb scope:SCOPE_SE
	s_wait_dscnt 0x0
	s_barrier_signal -1
	s_barrier_wait -1
	global_inv scope:SCOPE_SE
	ds_load_2addr_b32 v[0:1], v34 offset1:176
	ds_load_2addr_b32 v[6:7], v2 offset0:36 offset1:212
	ds_load_2addr_b32 v[4:5], v3 offset0:72 offset1:248
	ds_load_2addr_b32 v[2:3], v16 offset0:44 offset1:220
	v_cmp_gt_u16_e64 s0, 0x84, v48
	s_delay_alu instid0(VALU_DEP_1)
	s_and_saveexec_b32 s1, s0
	s_cbranch_execz .LBB0_13
; %bb.12:
	ds_load_b32 v8, v34 offset:1408
	ds_load_b32 v12, v34 offset:3344
	;; [unrolled: 1-line block ×4, first 2 shown]
	s_wait_dscnt 0x3
	v_lshrrev_b32_e32 v9, 16, v8
	s_wait_dscnt 0x2
	v_lshrrev_b32_e32 v14, 16, v12
	;; [unrolled: 2-line block ×4, first 2 shown]
.LBB0_13:
	s_wait_alu 0xfffe
	s_or_b32 exec_lo, exec_lo, s1
	v_and_b32_e32 v57, 3, v48
	v_lshlrev_b32_e32 v11, 2, v11
	s_wait_dscnt 0x2
	v_lshrrev_b32_e32 v25, 16, v6
	s_wait_dscnt 0x1
	v_lshrrev_b32_e32 v26, 16, v4
	;; [unrolled: 2-line block ×3, first 2 shown]
	v_mad_co_u64_u32 v[16:17], null, v57, 12, s[2:3]
	v_and_or_b32 v30, 0x3f0, v34, v57
	v_and_or_b32 v11, 0x7f0, v11, v57
	v_lshrrev_b32_e32 v29, 16, v7
	v_lshrrev_b32_e32 v31, 16, v5
	;; [unrolled: 1-line block ×3, first 2 shown]
	v_lshlrev_b32_e32 v77, 2, v30
	global_load_b96 v[16:18], v[16:17], off offset:8
	v_lshlrev_b32_e32 v76, 2, v11
	v_lshrrev_b32_e32 v24, 16, v0
	v_lshlrev_b32_e32 v69, 2, v10
	v_lshrrev_b32_e32 v28, 16, v1
	global_wb scope:SCOPE_SE
	s_wait_loadcnt 0x0
	s_barrier_signal -1
	s_barrier_wait -1
	global_inv scope:SCOPE_SE
	v_lshrrev_b32_e32 v74, 16, v16
	v_lshrrev_b32_e32 v75, 16, v17
	;; [unrolled: 1-line block ×3, first 2 shown]
	s_delay_alu instid0(VALU_DEP_3) | instskip(SKIP_1) | instid1(VALU_DEP_4)
	v_mul_f16_e32 v11, v25, v74
	v_mul_f16_e32 v30, v6, v74
	;; [unrolled: 1-line block ×18, first 2 shown]
	v_fma_f16 v11, v6, v16, -v11
	v_fmac_f16_e32 v30, v25, v16
	v_fma_f16 v4, v4, v17, -v33
	v_fmac_f16_e32 v78, v26, v17
	;; [unrolled: 2-line block ×9, first 2 shown]
	v_sub_f16_e32 v14, v0, v4
	v_sub_f16_e32 v15, v24, v78
	;; [unrolled: 1-line block ×10, first 2 shown]
	v_fma_f16 v0, v0, 2.0, -v14
	v_fma_f16 v12, v24, 2.0, -v15
	;; [unrolled: 1-line block ×8, first 2 shown]
	v_sub_f16_e32 v23, v14, v23
	v_add_f16_e32 v22, v15, v22
	v_sub_f16_e32 v11, v0, v11
	v_sub_f16_e32 v13, v12, v13
	;; [unrolled: 1-line block ×3, first 2 shown]
	v_add_f16_e32 v27, v26, v27
	v_sub_f16_e32 v7, v1, v7
	v_sub_f16_e32 v28, v24, v28
	;; [unrolled: 1-line block ×4, first 2 shown]
	v_fma_f16 v14, v14, 2.0, -v23
	v_fma_f16 v15, v15, 2.0, -v22
	;; [unrolled: 1-line block ×8, first 2 shown]
	v_sub_f16_e32 v79, v3, v5
	v_pack_b32_f16 v22, v23, v22
	v_pack_b32_f16 v11, v11, v13
	v_add_f16_e32 v80, v4, v6
	v_pack_b32_f16 v14, v14, v15
	v_pack_b32_f16 v0, v0, v12
	;; [unrolled: 1-line block ×6, first 2 shown]
	ds_store_2addr_b32 v77, v11, v22 offset0:8 offset1:12
	ds_store_2addr_b32 v77, v0, v14 offset1:4
	ds_store_2addr_b32 v76, v1, v13 offset1:4
	ds_store_2addr_b32 v76, v7, v23 offset0:8 offset1:12
	s_and_saveexec_b32 s1, s0
	s_cbranch_execz .LBB0_15
; %bb.14:
	v_fma_f16 v0, v8, 2.0, -v3
	v_fma_f16 v1, v2, 2.0, -v6
	v_fma_f16 v2, v9, 2.0, -v4
	v_fma_f16 v5, v10, 2.0, -v5
	v_fma_f16 v3, v3, 2.0, -v79
	v_fma_f16 v4, v4, 2.0, -v80
	v_sub_f16_e32 v1, v0, v1
	v_and_or_b32 v6, 0xff0, v69, v57
	v_sub_f16_e32 v5, v2, v5
	v_perm_b32 v7, v80, v79, 0x5040100
	v_pack_b32_f16 v3, v3, v4
	v_fma_f16 v0, v0, 2.0, -v1
	v_lshlrev_b32_e32 v6, 2, v6
	v_fma_f16 v2, v2, 2.0, -v5
	v_pack_b32_f16 v1, v1, v5
	s_delay_alu instid0(VALU_DEP_2)
	v_pack_b32_f16 v0, v0, v2
	ds_store_2addr_b32 v6, v0, v3 offset1:4
	ds_store_2addr_b32 v6, v1, v7 offset0:8 offset1:12
.LBB0_15:
	s_wait_alu 0xfffe
	s_or_b32 exec_lo, exec_lo, s1
	v_and_b32_e32 v13, 15, v48
	global_wb scope:SCOPE_SE
	s_wait_dscnt 0x0
	s_barrier_signal -1
	s_barrier_wait -1
	global_inv scope:SCOPE_SE
	v_mad_co_u64_u32 v[8:9], null, v13, 40, s[2:3]
	v_add_nc_u32_e32 v30, 0x500, v34
	v_add_nc_u32_e32 v28, 0xa00, v34
	;; [unrolled: 1-line block ×4, first 2 shown]
	v_lshrrev_b32_e32 v32, 4, v48
	s_clause 0x2
	global_load_b128 v[4:7], v[8:9], off offset:56
	global_load_b128 v[0:3], v[8:9], off offset:72
	global_load_b64 v[22:23], v[8:9], off offset:88
	ds_load_2addr_b32 v[8:9], v34 offset1:176
	ds_load_b32 v12, v34 offset:7040
	ds_load_2addr_b32 v[10:11], v30 offset0:32 offset1:208
	ds_load_2addr_b32 v[14:15], v28 offset0:64 offset1:240
	;; [unrolled: 1-line block ×3, first 2 shown]
	ds_load_2addr_b32 v[26:27], v31 offset1:176
	v_mul_u32_u24_e32 v78, 0xb0, v32
	v_mad_co_u64_u32 v[32:33], null, v48, 40, s[2:3]
	global_wb scope:SCOPE_SE
	s_wait_loadcnt_dscnt 0x0
	s_barrier_signal -1
	v_or_b32_e32 v13, v78, v13
	s_barrier_wait -1
	global_inv scope:SCOPE_SE
	s_add_nc_u64 s[2:3], s[16:17], 0x1e40
	v_lshlrev_b32_e32 v78, 2, v13
	v_lshrrev_b32_e32 v81, 16, v9
	v_lshrrev_b32_e32 v82, 16, v12
	;; [unrolled: 1-line block ×16, first 2 shown]
	v_mul_f16_e32 v101, v81, v100
	v_mul_f16_e32 v102, v9, v100
	v_lshrrev_b32_e32 v96, 16, v0
	v_lshrrev_b32_e32 v94, 16, v2
	;; [unrolled: 1-line block ×3, first 2 shown]
	v_mul_f16_e32 v103, v83, v99
	v_mul_f16_e32 v104, v10, v99
	;; [unrolled: 1-line block ×4, first 2 shown]
	v_fma_f16 v9, v9, v4, -v101
	v_fmac_f16_e32 v102, v81, v4
	v_lshrrev_b32_e32 v97, 16, v7
	v_lshrrev_b32_e32 v95, 16, v1
	v_mul_f16_e32 v119, v82, v92
	v_mul_f16_e32 v105, v84, v98
	;; [unrolled: 1-line block ×7, first 2 shown]
	v_fma_f16 v10, v10, v5, -v103
	v_fmac_f16_e32 v104, v83, v5
	v_fma_f16 v27, v27, v22, -v117
	v_fmac_f16_e32 v120, v82, v23
	v_add_f16_e32 v81, v8, v9
	v_add_f16_e32 v82, v13, v102
	v_mul_f16_e32 v107, v85, v97
	v_mul_f16_e32 v108, v14, v97
	;; [unrolled: 1-line block ×7, first 2 shown]
	v_fma_f16 v12, v12, v23, -v119
	v_fma_f16 v11, v11, v6, -v105
	v_fmac_f16_e32 v106, v84, v6
	v_fmac_f16_e32 v110, v86, v0
	;; [unrolled: 1-line block ×3, first 2 shown]
	v_fma_f16 v26, v26, v3, -v115
	v_add_f16_e32 v86, v10, v27
	v_sub_f16_e32 v88, v10, v27
	v_add_f16_e32 v10, v81, v10
	v_add_f16_e32 v81, v82, v104
	v_fma_f16 v14, v14, v7, -v107
	v_fmac_f16_e32 v108, v85, v7
	v_fma_f16 v15, v15, v0, -v109
	v_fma_f16 v24, v24, v1, -v111
	v_fmac_f16_e32 v112, v87, v1
	v_fma_f16 v25, v25, v2, -v113
	v_fmac_f16_e32 v116, v89, v3
	v_fmac_f16_e32 v118, v90, v22
	v_add_f16_e32 v83, v9, v12
	v_sub_f16_e32 v9, v9, v12
	v_sub_f16_e32 v85, v102, v120
	v_add_f16_e32 v84, v102, v120
	v_add_f16_e32 v101, v11, v26
	v_sub_f16_e32 v102, v11, v26
	v_add_f16_e32 v10, v10, v11
	v_add_f16_e32 v11, v81, v106
	;; [unrolled: 1-line block ×3, first 2 shown]
	v_sub_f16_e32 v89, v104, v118
	v_sub_f16_e32 v90, v106, v116
	;; [unrolled: 1-line block ×6, first 2 shown]
	v_mul_f16_e32 v82, 0xb853, v85
	v_mul_f16_e32 v104, 0xb853, v9
	;; [unrolled: 1-line block ×10, first 2 shown]
	v_add_f16_e32 v10, v10, v14
	v_add_f16_e32 v11, v11, v108
	;; [unrolled: 1-line block ×7, first 2 shown]
	v_mul_f16_e32 v127, 0xbb47, v89
	v_mul_f16_e64 v128, 0xbb47, v88
	v_mul_f16_e64 v129, 0xba0c, v89
	v_mul_f16_e64 v130, 0xba0c, v88
	v_mul_f16_e64 v131, 0x3482, v89
	v_mul_f16_e64 v132, 0x3482, v88
	v_mul_f16_e64 v133, 0x3beb, v89
	v_mul_f16_e64 v134, 0x3beb, v88
	v_mul_f16_e32 v89, 0x3853, v89
	v_mul_f16_e32 v88, 0x3853, v88
	v_mul_f16_e64 v135, 0xbbeb, v90
	v_mul_f16_e64 v136, 0x3482, v90
	v_mul_f16_e64 v137, 0x3b47, v90
	v_mul_f16_e64 v138, 0xb853, v90
	v_mul_f16_e32 v90, 0xba0c, v90
	v_mul_f16_e64 v139, 0xbbeb, v102
	v_mul_f16_e64 v140, 0x3482, v102
	v_mul_f16_e64 v141, 0x3b47, v102
	v_mul_f16_e64 v142, 0xb853, v102
	;; [unrolled: 5-line block ×6, first 2 shown]
	v_mul_f16_e32 v117, 0xbbeb, v117
	v_fma_f16 v159, v83, 0x3abb, -v82
	v_fma_f16 v160, 0x3abb, v84, v104
	v_fmac_f16_e32 v82, 0x3abb, v83
	v_fma_f16 v104, v84, 0x3abb, -v104
	v_fma_f16 v161, v83, 0x36a6, -v121
	v_fma_f16 v162, 0x36a6, v84, v122
	v_fmac_f16_e32 v121, 0x36a6, v83
	v_fma_f16 v122, v84, 0x36a6, -v122
	;; [unrolled: 4-line block ×5, first 2 shown]
	v_add_f16_e32 v10, v10, v15
	v_add_f16_e32 v11, v11, v110
	v_fma_f16 v83, v86, 0x36a6, -v127
	v_fma_f16 v84, 0x36a6, v87, v128
	v_fmac_f16_e32 v127, 0x36a6, v86
	v_fma_f16 v128, v87, 0x36a6, -v128
	v_fma_f16 v169, v86, 0xb93d, -v129
	v_fma_f16 v170, 0xb93d, v87, v130
	v_fmac_f16_e64 v129, 0xb93d, v86
	v_fma_f16 v130, v87, 0xb93d, -v130
	v_fma_f16 v171, v86, 0xbbad, -v131
	v_fma_f16 v172, 0xbbad, v87, v132
	v_fmac_f16_e64 v131, 0xbbad, v86
	;; [unrolled: 4-line block ×3, first 2 shown]
	v_fma_f16 v134, v87, 0xb08e, -v134
	v_fma_f16 v175, v86, 0x3abb, -v89
	v_fmac_f16_e32 v89, 0x3abb, v86
	v_fmamk_f16 v86, v87, 0x3abb, v88
	v_fma_f16 v87, v87, 0x3abb, -v88
	v_fma_f16 v88, v101, 0xb08e, -v135
	v_fmac_f16_e64 v135, 0xb08e, v101
	v_fma_f16 v176, v101, 0xbbad, -v136
	v_fmac_f16_e64 v136, 0xbbad, v101
	v_fma_f16 v177, v101, 0x36a6, -v137
	v_fmac_f16_e64 v137, 0x36a6, v101
	v_fma_f16 v178, v101, 0x3abb, -v138
	v_fmac_f16_e64 v138, 0x3abb, v101
	v_fma_f16 v179, v101, 0xb93d, -v90
	v_fmac_f16_e32 v90, 0xb93d, v101
	v_fma_f16 v81, 0xb08e, v103, v139
	v_fma_f16 v101, v103, 0xb08e, -v139
	v_fma_f16 v106, 0xbbad, v103, v140
	v_fma_f16 v139, v103, 0xbbad, -v140
	v_fma_f16 v140, 0x36a6, v103, v141
	v_fma_f16 v141, v103, 0x36a6, -v141
	v_fma_f16 v180, 0x3abb, v103, v142
	v_fma_f16 v142, v103, 0x3abb, -v142
	v_fma_f16 v181, 0xb93d, v103, v102
	v_fma_f16 v102, v103, 0xb93d, -v102
	v_fma_f16 v103, v107, 0xb93d, -v143
	v_fmac_f16_e64 v143, 0xb93d, v107
	v_fma_f16 v182, v107, 0xb08e, -v144
	v_fmac_f16_e64 v144, 0xb08e, v107
	v_fma_f16 v183, v107, 0x3abb, -v145
	v_fmac_f16_e64 v145, 0x3abb, v107
	v_fma_f16 v184, v107, 0xbbad, -v146
	v_fmac_f16_e64 v146, 0xbbad, v107
	v_fma_f16 v185, v107, 0x36a6, -v105
	v_fmac_f16_e32 v105, 0x36a6, v107
	v_fma_f16 v107, 0xb93d, v111, v147
	v_fma_f16 v147, v111, 0xb93d, -v147
	v_fma_f16 v186, 0xb08e, v111, v148
	v_fma_f16 v148, v111, 0xb08e, -v148
	v_fma_f16 v187, 0x3abb, v111, v149
	v_fma_f16 v149, v111, 0x3abb, -v149
	v_fma_f16 v188, 0xbbad, v111, v150
	v_fma_f16 v150, v111, 0xbbad, -v150
	v_fma_f16 v189, 0x36a6, v111, v109
	;; [unrolled: 20-line block ×3, first 2 shown]
	v_fma_f16 v117, v119, 0xb08e, -v117
	v_add_f16_e64 v119, v8, v159
	v_add_f16_e32 v82, v8, v82
	v_add_f16_e64 v159, v8, v161
	v_add_f16_e32 v121, v8, v121
	;; [unrolled: 2-line block ×10, first 2 shown]
	v_add_f16_e32 v10, v10, v24
	v_add_f16_e32 v11, v11, v112
	;; [unrolled: 1-line block ×5, first 2 shown]
	v_add_f16_e64 v82, v128, v85
	v_add_f16_e64 v83, v169, v159
	;; [unrolled: 1-line block ×15, first 2 shown]
	v_add_f16_e32 v8, v89, v8
	v_add_f16_e32 v9, v87, v9
	;; [unrolled: 1-line block ×7, first 2 shown]
	v_add_f16_e64 v81, v176, v83
	v_add_f16_e32 v82, v106, v84
	v_add_f16_e64 v83, v136, v85
	v_add_f16_e64 v84, v139, v104
	;; [unrolled: 1-line block ×12, first 2 shown]
	v_add_f16_e32 v8, v90, v8
	v_add_f16_e32 v9, v102, v9
	v_add_f16_e64 v15, v135, v15
	v_add_f16_e32 v10, v10, v26
	v_add_f16_e32 v11, v11, v116
	v_add_f16_e32 v13, v103, v13
	v_add_f16_e32 v14, v107, v14
	v_add_f16_e64 v25, v182, v81
	v_add_f16_e64 v81, v186, v82
	v_add_f16_e64 v82, v144, v83
	v_add_f16_e64 v83, v148, v84
	v_add_f16_e64 v84, v183, v85
	v_add_f16_e64 v85, v187, v87
	v_add_f16_e64 v87, v145, v88
	v_add_f16_e64 v88, v149, v89
	v_add_f16_e64 v89, v184, v101
	v_add_f16_e64 v90, v188, v104
	v_add_f16_e64 v101, v146, v106
	v_add_f16_e64 v102, v150, v108
	v_add_f16_e64 v103, v185, v110
	v_add_f16_e64 v86, v189, v86
	v_add_f16_e32 v8, v105, v8
	v_add_f16_e32 v9, v109, v9
	v_add_f16_e64 v15, v143, v15
	v_add_f16_e64 v24, v147, v24
	v_add_f16_e32 v10, v10, v27
	v_add_f16_e32 v11, v11, v118
	;; [unrolled: 1-line block ×4, first 2 shown]
	v_add_f16_e64 v25, v190, v25
	v_add_f16_e64 v26, v194, v81
	;; [unrolled: 1-line block ×14, first 2 shown]
	v_add_f16_e32 v8, v113, v8
	v_add_f16_e32 v9, v117, v9
	v_add_f16_e64 v15, v151, v15
	v_add_f16_e64 v24, v155, v24
	v_add_f16_e32 v10, v10, v12
	v_add_f16_e32 v11, v11, v120
	v_pack_b32_f16 v13, v13, v14
	v_pack_b32_f16 v14, v25, v26
	;; [unrolled: 1-line block ×11, first 2 shown]
	ds_store_2addr_b32 v78, v14, v25 offset0:32 offset1:48
	ds_store_2addr_b32 v78, v26, v27 offset0:64 offset1:80
	;; [unrolled: 1-line block ×4, first 2 shown]
	ds_store_b32 v78, v15 offset:640
	ds_store_2addr_b32 v78, v10, v13 offset1:16
	global_wb scope:SCOPE_SE
	s_wait_dscnt 0x0
	s_barrier_signal -1
	s_barrier_wait -1
	global_inv scope:SCOPE_SE
	s_clause 0x2
	global_load_b128 v[12:15], v[32:33], off offset:696
	global_load_b128 v[8:11], v[32:33], off offset:712
	global_load_b64 v[24:25], v[32:33], off offset:728
	ds_load_2addr_b32 v[26:27], v34 offset1:176
	ds_load_2addr_b32 v[111:112], v30 offset0:32 offset1:208
	ds_load_2addr_b32 v[115:116], v28 offset0:64 offset1:240
	;; [unrolled: 1-line block ×3, first 2 shown]
	ds_load_2addr_b32 v[119:120], v31 offset1:176
	ds_load_b32 v102, v34 offset:7040
	s_wait_dscnt 0x5
	v_lshrrev_b32_e32 v104, 16, v27
	s_wait_dscnt 0x4
	v_lshrrev_b32_e32 v107, 16, v111
	v_lshrrev_b32_e32 v109, 16, v112
	s_wait_dscnt 0x3
	v_lshrrev_b32_e32 v121, 16, v115
	v_lshrrev_b32_e32 v105, 16, v26
	;; [unrolled: 1-line block ×3, first 2 shown]
	s_wait_dscnt 0x1
	v_lshrrev_b32_e32 v125, 16, v119
	s_wait_dscnt 0x0
	v_lshrrev_b32_e32 v127, 16, v102
	v_lshrrev_b32_e32 v123, 16, v117
	v_lshrrev_b32_e32 v124, 16, v118
	v_lshrrev_b32_e32 v126, 16, v120
	s_wait_loadcnt 0x2
	v_lshrrev_b32_e32 v90, 16, v12
	v_lshrrev_b32_e32 v89, 16, v13
	;; [unrolled: 1-line block ×4, first 2 shown]
	s_wait_loadcnt 0x1
	v_lshrrev_b32_e32 v86, 16, v8
	v_mul_f16_e32 v114, v104, v90
	v_mul_f16_e64 v128, v27, v90
	v_lshrrev_b32_e32 v83, 16, v11
	s_wait_loadcnt 0x0
	v_lshrrev_b32_e32 v82, 16, v25
	v_mul_f16_e64 v129, v107, v89
	v_mul_f16_e64 v130, v111, v89
	;; [unrolled: 1-line block ×4, first 2 shown]
	v_mul_f16_e32 v108, v116, v86
	v_fma_f16 v139, v27, v12, -v114
	v_fmac_f16_e64 v128, v104, v12
	v_lshrrev_b32_e32 v85, 16, v9
	v_lshrrev_b32_e32 v84, 16, v10
	;; [unrolled: 1-line block ×3, first 2 shown]
	v_mul_f16_e32 v113, v112, v88
	v_mul_f16_e32 v110, v115, v87
	v_mul_f16_e64 v133, v122, v86
	v_mul_f16_e64 v136, v125, v83
	v_mul_f16_e32 v101, v119, v83
	v_mul_f16_e64 v138, v127, v82
	v_mul_f16_e32 v32, v102, v82
	v_fma_f16 v129, v111, v13, -v129
	v_fmac_f16_e64 v130, v107, v13
	v_fma_f16 v114, v112, v14, -v131
	v_fma_f16 v112, v115, v15, -v132
	v_fmac_f16_e32 v108, v122, v8
	v_add_f16_e64 v115, v26, v139
	v_add_f16_e64 v122, v105, v128
	v_mul_f16_e64 v134, v123, v85
	v_mul_f16_e32 v106, v117, v85
	v_mul_f16_e64 v135, v124, v84
	v_mul_f16_e32 v103, v118, v84
	;; [unrolled: 2-line block ×3, first 2 shown]
	v_fmac_f16_e32 v113, v109, v14
	v_fma_f16 v104, v119, v11, -v136
	v_fmac_f16_e32 v101, v125, v11
	v_fmac_f16_e32 v32, v127, v25
	v_fma_f16 v27, v102, v25, -v138
	v_add_f16_e64 v115, v115, v129
	v_add_f16_e64 v122, v122, v130
	v_fmac_f16_e32 v110, v121, v15
	v_fma_f16 v111, v116, v8, -v133
	v_fma_f16 v109, v117, v9, -v134
	v_fmac_f16_e32 v106, v123, v9
	v_fma_f16 v107, v118, v10, -v135
	v_fmac_f16_e32 v103, v124, v10
	;; [unrolled: 2-line block ×3, first 2 shown]
	v_sub_f16_e64 v116, v128, v32
	v_sub_f16_e64 v117, v139, v27
	v_add_f16_e64 v119, v128, v32
	v_sub_f16_e32 v125, v113, v101
	v_add_f16_e32 v126, v114, v104
	v_sub_f16_e32 v127, v114, v104
	v_add_f16_e64 v128, v113, v101
	v_add_f16_e32 v114, v115, v114
	v_add_f16_e32 v113, v122, v113
	v_add_f16_e64 v118, v139, v27
	v_sub_f16_e64 v120, v130, v33
	v_sub_f16_e64 v123, v129, v102
	;; [unrolled: 1-line block ×3, first 2 shown]
	v_add_f16_e64 v132, v112, v107
	v_sub_f16_e64 v133, v112, v107
	v_add_f16_e64 v134, v110, v103
	v_sub_f16_e64 v135, v108, v106
	v_sub_f16_e64 v137, v111, v109
	v_mul_f16_e64 v139, 0xb853, v116
	v_mul_f16_e64 v140, 0xb853, v117
	v_add_f16_e32 v112, v114, v112
	v_add_f16_e32 v110, v113, v110
	v_mul_f16_e64 v141, 0xbb47, v116
	v_mul_f16_e64 v142, 0xbb47, v117
	;; [unrolled: 1-line block ×5, first 2 shown]
	v_mul_f16_e32 v116, 0xb482, v116
	v_mul_f16_e64 v146, 0xba0c, v117
	v_mul_f16_e32 v117, 0xb482, v117
	v_add_f16_e64 v121, v129, v102
	v_add_f16_e64 v124, v130, v33
	;; [unrolled: 1-line block ×4, first 2 shown]
	v_mul_f16_e64 v147, 0xbb47, v120
	v_mul_f16_e64 v148, 0xba0c, v120
	v_mul_f16_e64 v149, 0x3482, v120
	v_mul_f16_e64 v150, 0x3beb, v120
	v_mul_f16_e32 v120, 0x3853, v120
	v_mul_f16_e64 v129, 0xbb47, v123
	v_mul_f16_e64 v130, 0xba0c, v123
	v_mul_f16_e64 v151, 0x3482, v123
	v_mul_f16_e64 v152, 0x3beb, v123
	v_mul_f16_e32 v123, 0x3853, v123
	;; [unrolled: 5-line block ×4, first 2 shown]
	v_mul_f16_e64 v161, 0xba0c, v131
	v_mul_f16_e64 v162, 0x3beb, v131
	;; [unrolled: 1-line block ×20, first 2 shown]
	v_fma_f16 v177, v118, 0x3abb, -v139
	v_fma_f16 v178, 0x3abb, v119, v140
	v_add_f16_e32 v111, v112, v111
	v_add_f16_e32 v108, v110, v108
	v_fmac_f16_e64 v139, 0x3abb, v118
	v_fma_f16 v140, v119, 0x3abb, -v140
	v_fma_f16 v179, v118, 0x36a6, -v141
	v_fma_f16 v180, 0x36a6, v119, v142
	v_fmac_f16_e64 v141, 0x36a6, v118
	v_fma_f16 v142, v119, 0x36a6, -v142
	v_fma_f16 v181, v118, 0xb08e, -v143
	v_fmac_f16_e64 v143, 0xb08e, v118
	v_fma_f16 v182, v118, 0xb93d, -v145
	v_fmac_f16_e64 v145, 0xb93d, v118
	v_fma_f16 v183, v118, 0xbbad, -v116
	v_fmac_f16_e32 v116, 0xbbad, v118
	v_fma_f16 v118, 0xb08e, v119, v144
	v_fma_f16 v144, v119, 0xb08e, -v144
	v_fma_f16 v184, 0xb93d, v119, v146
	v_fma_f16 v146, v119, 0xb93d, -v146
	;; [unrolled: 2-line block ×3, first 2 shown]
	v_fma_f16 v119, v121, 0x36a6, -v147
	v_fmac_f16_e64 v147, 0x36a6, v121
	v_fma_f16 v186, v121, 0xb93d, -v148
	v_fmac_f16_e64 v148, 0xb93d, v121
	;; [unrolled: 2-line block ×4, first 2 shown]
	v_fma_f16 v189, v121, 0x3abb, -v120
	v_fmac_f16_e32 v120, 0x3abb, v121
	v_fma_f16 v121, 0x36a6, v124, v129
	v_fma_f16 v129, v124, 0x36a6, -v129
	v_fma_f16 v190, 0xb93d, v124, v130
	v_fma_f16 v130, v124, 0xb93d, -v130
	;; [unrolled: 2-line block ×5, first 2 shown]
	v_fma_f16 v124, v126, 0xb08e, -v153
	v_fmac_f16_e64 v153, 0xb08e, v126
	v_fma_f16 v194, v126, 0xbbad, -v154
	v_fmac_f16_e64 v154, 0xbbad, v126
	;; [unrolled: 2-line block ×4, first 2 shown]
	v_fma_f16 v197, v126, 0xb93d, -v125
	v_fmac_f16_e32 v125, 0xb93d, v126
	v_fma_f16 v115, 0xb08e, v128, v157
	v_fma_f16 v122, v128, 0xb08e, -v157
	v_fma_f16 v126, 0xbbad, v128, v158
	v_fma_f16 v157, v128, 0xbbad, -v158
	;; [unrolled: 2-line block ×5, first 2 shown]
	v_fma_f16 v128, v132, 0xb93d, -v161
	v_fmac_f16_e64 v161, 0xb93d, v132
	v_fma_f16 v200, v132, 0xb08e, -v162
	v_fmac_f16_e64 v162, 0xb08e, v132
	;; [unrolled: 2-line block ×5, first 2 shown]
	v_fma_f16 v132, 0xb93d, v134, v165
	v_fma_f16 v165, v134, 0xb93d, -v165
	v_fma_f16 v204, 0xb08e, v134, v166
	v_fma_f16 v166, v134, 0xb08e, -v166
	;; [unrolled: 2-line block ×5, first 2 shown]
	v_fma_f16 v134, v136, 0xbbad, -v169
	v_fmac_f16_e64 v169, 0xbbad, v136
	v_fma_f16 v208, v136, 0x3abb, -v170
	v_fmac_f16_e64 v170, 0x3abb, v136
	;; [unrolled: 2-line block ×5, first 2 shown]
	v_fma_f16 v136, 0xbbad, v138, v173
	v_fma_f16 v173, v138, 0xbbad, -v173
	v_fma_f16 v212, 0x3abb, v138, v174
	v_fma_f16 v174, v138, 0x3abb, -v174
	;; [unrolled: 2-line block ×5, first 2 shown]
	v_add_f16_e64 v138, v26, v177
	v_add_f16_e64 v113, v105, v178
	v_add_f16_e32 v109, v111, v109
	v_add_f16_e32 v106, v108, v106
	v_add_f16_e64 v139, v26, v139
	v_add_f16_e64 v177, v26, v179
	;; [unrolled: 1-line block ×8, first 2 shown]
	v_add_f16_e32 v26, v26, v116
	v_add_f16_e64 v114, v105, v140
	v_add_f16_e64 v116, v105, v180
	;; [unrolled: 1-line block ×3, first 2 shown]
	v_add_f16_e32 v118, v105, v118
	v_add_f16_e64 v142, v105, v144
	v_add_f16_e64 v144, v105, v184
	;; [unrolled: 1-line block ×4, first 2 shown]
	v_add_f16_e32 v105, v105, v117
	v_add_f16_e64 v110, v119, v138
	v_add_f16_e32 v112, v121, v113
	v_add_f16_e32 v107, v109, v107
	;; [unrolled: 1-line block ×3, first 2 shown]
	v_add_f16_e64 v113, v147, v139
	v_add_f16_e64 v114, v129, v114
	;; [unrolled: 1-line block ×16, first 2 shown]
	v_add_f16_e32 v26, v120, v26
	v_add_f16_e32 v105, v123, v105
	;; [unrolled: 1-line block ×6, first 2 shown]
	v_add_f16_e64 v111, v153, v113
	v_add_f16_e32 v112, v122, v114
	v_add_f16_e64 v113, v194, v117
	v_add_f16_e32 v114, v126, v116
	v_add_f16_e64 v115, v154, v119
	v_add_f16_e64 v116, v157, v121
	v_add_f16_e64 v117, v195, v129
	v_add_f16_e64 v118, v158, v118
	v_add_f16_e64 v119, v155, v130
	v_add_f16_e64 v120, v159, v138
	v_add_f16_e64 v121, v196, v139
	v_add_f16_e64 v122, v198, v140
	v_add_f16_e64 v123, v156, v141
	v_add_f16_e64 v124, v160, v142
	v_add_f16_e64 v126, v197, v143
	v_add_f16_e64 v129, v199, v144
	v_add_f16_e32 v26, v125, v26
	v_add_f16_e32 v105, v127, v105
	v_add_f16_e64 v106, v128, v108
	v_add_f16_e64 v108, v132, v110
	v_add_f16_e32 v102, v104, v102
	v_add_f16_e32 v33, v107, v33
	v_add_f16_e64 v109, v161, v111
	v_add_f16_e64 v110, v165, v112
	;; [unrolled: 1-line block ×20, first 2 shown]
	v_add_f16_e32 v27, v102, v27
	v_add_f16_e32 v32, v33, v32
	v_add_f16_e64 v101, v169, v109
	v_add_f16_e64 v103, v173, v110
	;; [unrolled: 1-line block ×18, first 2 shown]
	v_pack_b32_f16 v105, v106, v108
	v_pack_b32_f16 v27, v27, v32
	;; [unrolled: 1-line block ×11, first 2 shown]
	ds_store_2addr_b32 v34, v27, v105 offset1:176
	ds_store_2addr_b32 v30, v106, v33 offset0:32 offset1:208
	ds_store_2addr_b32 v28, v102, v107 offset0:64 offset1:240
	;; [unrolled: 1-line block ×3, first 2 shown]
	ds_store_2addr_b32 v31, v104, v108 offset1:176
	ds_store_b32 v34, v109 offset:7040
	global_wb scope:SCOPE_SE
	s_wait_dscnt 0x0
	s_barrier_signal -1
	s_barrier_wait -1
	global_inv scope:SCOPE_SE
	s_clause 0x9
	global_load_b32 v29, v[19:20], off offset:7744
	global_load_b32 v32, v34, s[2:3] offset:6688
	global_load_b32 v102, v34, s[2:3] offset:704
	;; [unrolled: 1-line block ×9, first 2 shown]
	ds_load_2addr_b32 v[27:28], v34 offset1:176
	ds_load_b32 v33, v34 offset:6688
	ds_load_b32 v115, v34 offset:2816
	v_add_nc_u32_e32 v26, 0xe00, v34
	v_add_nc_u32_e32 v116, 0x200, v34
	s_wait_dscnt 0x2
	v_lshrrev_b32_e32 v31, 16, v27
	s_wait_dscnt 0x1
	v_lshrrev_b32_e32 v105, 16, v33
	;; [unrolled: 2-line block ×3, first 2 shown]
	s_wait_loadcnt 0x8
	v_lshrrev_b32_e32 v106, 16, v32
	s_wait_loadcnt 0x7
	v_lshrrev_b32_e32 v119, 16, v102
	;; [unrolled: 2-line block ×4, first 2 shown]
	v_mul_f16_e32 v117, v105, v106
	v_mul_f16_e32 v106, v33, v106
	v_lshrrev_b32_e32 v104, 16, v29
	s_wait_loadcnt 0x3
	v_lshrrev_b32_e32 v125, 16, v111
	v_mul_f16_e32 v124, v118, v122
	v_fma_f16 v33, v33, v32, -v117
	v_fmac_f16_e32 v106, v105, v32
	v_mul_f16_e32 v107, v31, v104
	v_mul_f16_e32 v104, v27, v104
	v_lshrrev_b32_e32 v117, 16, v28
	v_mul_f16_e32 v122, v115, v122
	v_pack_b32_f16 v120, v33, v106
	v_fma_f16 v27, v27, v29, -v107
	v_fmac_f16_e32 v104, v31, v29
	v_add_nc_u32_e32 v31, 0x1400, v34
	v_mul_f16_e32 v123, v117, v119
	v_mul_f16_e32 v119, v28, v119
	v_fmac_f16_e32 v122, v118, v110
	v_pack_b32_f16 v27, v27, v104
	v_add_nc_u32_e32 v29, 0x800, v34
	v_fma_f16 v28, v28, v102, -v123
	v_fmac_f16_e32 v119, v117, v102
	v_fma_f16 v102, v115, v110, -v124
	ds_store_b32 v34, v27
	ds_load_2addr_b32 v[32:33], v26 offset0:72 offset1:248
	ds_load_2addr_b32 v[104:105], v30 offset0:32 offset1:208
	;; [unrolled: 1-line block ×3, first 2 shown]
	v_lshrrev_b32_e32 v27, 16, v108
	v_pack_b32_f16 v28, v28, v119
	v_pack_b32_f16 v102, v102, v122
	s_wait_loadcnt 0x2
	v_lshrrev_b32_e32 v110, 16, v112
	s_wait_loadcnt 0x0
	v_lshrrev_b32_e32 v117, 16, v114
	v_lshrrev_b32_e32 v115, 16, v113
	s_wait_dscnt 0x2
	v_lshrrev_b32_e32 v118, 16, v32
	v_mul_f16_e32 v119, v32, v27
	v_lshrrev_b32_e32 v122, 16, v33
	s_wait_dscnt 0x1
	v_lshrrev_b32_e32 v124, 16, v104
	s_wait_dscnt 0x0
	v_lshrrev_b32_e32 v127, 16, v106
	v_lshrrev_b32_e32 v131, 16, v107
	v_lshrrev_b32_e32 v129, 16, v105
	v_mul_f16_e32 v123, v33, v121
	v_mul_f16_e32 v27, v118, v27
	v_fmac_f16_e32 v119, v118, v108
	v_mul_f16_e32 v118, v122, v121
	v_mul_f16_e32 v126, v104, v125
	;; [unrolled: 1-line block ×3, first 2 shown]
	v_mul_f16_e64 v128, v106, v110
	v_mul_f16_e64 v132, v107, v117
	v_mul_f16_e32 v110, v127, v110
	v_mul_f16_e64 v117, v131, v117
	v_mul_f16_e64 v130, v105, v115
	;; [unrolled: 1-line block ×3, first 2 shown]
	v_fmac_f16_e32 v123, v122, v109
	v_fma_f16 v27, v32, v108, -v27
	v_fma_f16 v32, v33, v109, -v118
	v_fmac_f16_e32 v126, v124, v111
	v_fma_f16 v33, v104, v111, -v121
	v_fmac_f16_e64 v128, v127, v112
	v_fmac_f16_e64 v132, v131, v114
	v_fma_f16 v104, v106, v112, -v110
	v_fma_f16 v106, v107, v114, -v117
	v_fmac_f16_e64 v130, v129, v113
	v_fma_f16 v105, v105, v113, -v115
	v_pack_b32_f16 v27, v27, v119
	v_pack_b32_f16 v32, v32, v123
	;; [unrolled: 1-line block ×6, first 2 shown]
	ds_store_2addr_b32 v26, v27, v32 offset0:72 offset1:248
	ds_store_2addr_b32 v116, v28, v33 offset0:48 offset1:224
	;; [unrolled: 1-line block ×4, first 2 shown]
	ds_store_b32 v34, v120 offset:6688
	s_and_saveexec_b32 s1, vcc_lo
	s_cbranch_execz .LBB0_17
; %bb.16:
	s_wait_alu 0xfffe
	v_add_co_u32 v27, s2, s2, v34
	s_wait_alu 0xf1ff
	v_add_co_ci_u32_e64 v28, null, s3, 0, s2
	s_clause 0x1
	global_load_b32 v29, v[27:28], off offset:3520
	global_load_b32 v27, v[27:28], off offset:7392
	ds_load_b32 v28, v34 offset:3520
	ds_load_b32 v32, v34 offset:7392
	s_wait_dscnt 0x1
	v_lshrrev_b32_e32 v33, 16, v28
	s_wait_dscnt 0x0
	v_lshrrev_b32_e32 v104, 16, v32
	s_wait_loadcnt 0x1
	v_lshrrev_b32_e32 v102, 16, v29
	s_wait_loadcnt 0x0
	v_lshrrev_b32_e32 v105, 16, v27
	s_delay_alu instid0(VALU_DEP_2) | instskip(SKIP_1) | instid1(VALU_DEP_3)
	v_mul_f16_e32 v106, v33, v102
	v_mul_f16_e32 v102, v28, v102
	;; [unrolled: 1-line block ×4, first 2 shown]
	s_delay_alu instid0(VALU_DEP_4) | instskip(NEXT) | instid1(VALU_DEP_4)
	v_fma_f16 v28, v28, v29, -v106
	v_fmac_f16_e32 v102, v33, v29
	s_delay_alu instid0(VALU_DEP_4) | instskip(NEXT) | instid1(VALU_DEP_4)
	v_fma_f16 v29, v32, v27, -v107
	v_fmac_f16_e32 v105, v104, v27
	s_delay_alu instid0(VALU_DEP_3) | instskip(NEXT) | instid1(VALU_DEP_2)
	v_pack_b32_f16 v27, v28, v102
	v_pack_b32_f16 v28, v29, v105
	ds_store_b32 v34, v27 offset:3520
	ds_store_b32 v34, v28 offset:7392
.LBB0_17:
	s_wait_alu 0xfffe
	s_or_b32 exec_lo, exec_lo, s1
	global_wb scope:SCOPE_SE
	s_wait_dscnt 0x0
	s_barrier_signal -1
	s_barrier_wait -1
	global_inv scope:SCOPE_SE
	ds_load_2addr_b32 v[28:29], v34 offset1:176
	ds_load_2addr_b32 v[32:33], v26 offset0:72 offset1:248
	ds_load_2addr_b32 v[26:27], v30 offset0:32 offset1:208
	;; [unrolled: 1-line block ×3, first 2 shown]
	ds_load_b32 v105, v34 offset:2816
	ds_load_b32 v106, v34 offset:6688
	v_lshlrev_b32_e32 v104, 2, v71
	v_lshlrev_b32_e32 v102, 2, v72
	s_and_saveexec_b32 s1, vcc_lo
	s_cbranch_execz .LBB0_19
; %bb.18:
	ds_load_b32 v101, v34 offset:3520
	ds_load_b32 v79, v34 offset:7392
	s_wait_dscnt 0x1
	v_lshrrev_b32_e32 v103, 16, v101
	s_wait_dscnt 0x0
	v_lshrrev_b32_e32 v80, 16, v79
.LBB0_19:
	s_wait_alu 0xfffe
	s_or_b32 exec_lo, exec_lo, s1
	s_wait_dscnt 0x4
	v_pk_add_f16 v32, v28, v32 neg_lo:[0,1] neg_hi:[0,1]
	v_sub_f16_e32 v79, v101, v79
	v_sub_f16_e32 v80, v103, v80
	v_pk_add_f16 v107, v29, v33 neg_lo:[0,1] neg_hi:[0,1]
	s_wait_dscnt 0x2
	v_pk_add_f16 v30, v26, v30 neg_lo:[0,1] neg_hi:[0,1]
	v_pk_add_f16 v109, v27, v31 neg_lo:[0,1] neg_hi:[0,1]
	s_wait_dscnt 0x0
	v_pk_add_f16 v111, v105, v106 neg_lo:[0,1] neg_hi:[0,1]
	v_fma_f16 v71, v101, 2.0, -v79
	v_fma_f16 v72, v103, 2.0, -v80
	v_pk_fma_f16 v31, v28, 2.0, v32 op_sel_hi:[1,0,1] neg_lo:[0,0,1] neg_hi:[0,0,1]
	v_pk_fma_f16 v106, v29, 2.0, v107 op_sel_hi:[1,0,1] neg_lo:[0,0,1] neg_hi:[0,0,1]
	;; [unrolled: 1-line block ×5, first 2 shown]
	global_wb scope:SCOPE_SE
	s_barrier_signal -1
	s_barrier_wait -1
	global_inv scope:SCOPE_SE
	ds_store_b64 v59, v[31:32]
	ds_store_b64 v60, v[106:107]
	;; [unrolled: 1-line block ×5, first 2 shown]
	s_and_saveexec_b32 s1, vcc_lo
	s_cbranch_execz .LBB0_21
; %bb.20:
	v_perm_b32 v27, v80, v79, 0x5040100
	v_perm_b32 v26, v72, v71, 0x5040100
	ds_store_b64 v63, v[26:27]
.LBB0_21:
	s_wait_alu 0xfffe
	s_or_b32 exec_lo, exec_lo, s1
	v_add_nc_u32_e32 v26, 0xe00, v34
	v_add_nc_u32_e32 v27, 0x500, v34
	v_add_nc_u32_e32 v30, 0x1400, v34
	global_wb scope:SCOPE_SE
	s_wait_dscnt 0x0
	s_barrier_signal -1
	s_barrier_wait -1
	global_inv scope:SCOPE_SE
	ds_load_2addr_b32 v[28:29], v34 offset1:176
	ds_load_2addr_b32 v[32:33], v26 offset0:72 offset1:248
	ds_load_2addr_b32 v[26:27], v27 offset0:32 offset1:208
	;; [unrolled: 1-line block ×3, first 2 shown]
	ds_load_b32 v60, v34 offset:2816
	ds_load_b32 v59, v34 offset:6688
	s_and_saveexec_b32 s1, vcc_lo
	s_cbranch_execz .LBB0_23
; %bb.22:
	ds_load_b32 v71, v34 offset:3520
	ds_load_b32 v79, v34 offset:7392
	s_wait_dscnt 0x1
	v_lshrrev_b32_e32 v72, 16, v71
	s_wait_dscnt 0x0
	v_lshrrev_b32_e32 v80, 16, v79
.LBB0_23:
	s_wait_alu 0xfffe
	s_or_b32 exec_lo, exec_lo, s1
	s_wait_dscnt 0x4
	v_lshrrev_b32_e32 v102, 16, v33
	v_lshrrev_b32_e32 v63, 16, v32
	s_wait_dscnt 0x2
	v_lshrrev_b32_e32 v104, 16, v30
	v_mul_f16_e32 v109, v70, v32
	v_mul_f16_e32 v112, v70, v33
	;; [unrolled: 1-line block ×4, first 2 shown]
	v_lshrrev_b32_e32 v106, 16, v31
	s_wait_dscnt 0x0
	v_lshrrev_b32_e32 v111, 16, v59
	v_lshrrev_b32_e32 v62, 16, v28
	v_fmac_f16_e32 v110, v58, v33
	v_mul_f16_e32 v33, v70, v104
	v_fmac_f16_e32 v108, v58, v32
	v_fma_f16 v32, v58, v63, -v109
	v_fma_f16 v63, v58, v102, -v112
	v_mul_f16_e32 v102, v70, v30
	v_mul_f16_e32 v109, v70, v106
	;; [unrolled: 1-line block ×3, first 2 shown]
	v_fmac_f16_e32 v33, v58, v30
	v_mul_f16_e32 v30, v70, v111
	v_fma_f16 v102, v58, v104, -v102
	v_mul_f16_e32 v104, v70, v59
	v_fmac_f16_e32 v109, v58, v31
	v_fma_f16 v31, v58, v106, -v112
	v_fmac_f16_e32 v30, v58, v59
	v_mul_f16_e32 v106, v70, v80
	v_mul_f16_e32 v59, v70, v79
	v_lshrrev_b32_e32 v101, 16, v29
	v_lshrrev_b32_e32 v103, 16, v26
	;; [unrolled: 1-line block ×4, first 2 shown]
	v_fma_f16 v70, v58, v111, -v104
	v_sub_f16_e32 v108, v28, v108
	v_sub_f16_e32 v32, v62, v32
	v_fmac_f16_e32 v106, v58, v79
	v_fma_f16 v58, v58, v80, -v59
	v_sub_f16_e32 v79, v29, v110
	v_sub_f16_e32 v104, v101, v63
	;; [unrolled: 1-line block ×8, first 2 shown]
	v_fma_f16 v28, v28, 2.0, -v108
	v_fma_f16 v80, v62, 2.0, -v32
	v_sub_f16_e32 v62, v71, v106
	v_sub_f16_e32 v70, v72, v58
	v_fma_f16 v29, v29, 2.0, -v79
	v_fma_f16 v101, v101, 2.0, -v104
	;; [unrolled: 1-line block ×10, first 2 shown]
	v_pack_b32_f16 v28, v28, v80
	v_pack_b32_f16 v32, v108, v32
	;; [unrolled: 1-line block ×10, first 2 shown]
	global_wb scope:SCOPE_SE
	s_barrier_signal -1
	s_barrier_wait -1
	global_inv scope:SCOPE_SE
	ds_store_2addr_b32 v64, v28, v32 offset1:2
	ds_store_2addr_b32 v65, v29, v79 offset1:2
	;; [unrolled: 1-line block ×5, first 2 shown]
	s_and_saveexec_b32 s1, vcc_lo
	s_cbranch_execz .LBB0_25
; %bb.24:
	v_and_or_b32 v26, 0x7fc, v61, v56
	v_perm_b32 v27, v72, v71, 0x5040100
	v_perm_b32 v28, v70, v62, 0x5040100
	s_delay_alu instid0(VALU_DEP_3)
	v_lshlrev_b32_e32 v26, 2, v26
	ds_store_2addr_b32 v26, v27, v28 offset1:2
.LBB0_25:
	s_wait_alu 0xfffe
	s_or_b32 exec_lo, exec_lo, s1
	v_add_nc_u32_e32 v28, 0x700, v34
	v_add_nc_u32_e32 v29, 0xe00, v34
	;; [unrolled: 1-line block ×3, first 2 shown]
	global_wb scope:SCOPE_SE
	s_wait_dscnt 0x0
	s_barrier_signal -1
	s_barrier_wait -1
	global_inv scope:SCOPE_SE
	ds_load_2addr_b32 v[26:27], v34 offset1:176
	ds_load_2addr_b32 v[32:33], v28 offset0:36 offset1:212
	ds_load_2addr_b32 v[30:31], v29 offset0:72 offset1:248
	;; [unrolled: 1-line block ×3, first 2 shown]
	s_and_saveexec_b32 s1, s0
	s_cbranch_execz .LBB0_27
; %bb.26:
	ds_load_b32 v58, v34 offset:1408
	ds_load_b32 v59, v34 offset:3344
	;; [unrolled: 1-line block ×4, first 2 shown]
	s_wait_dscnt 0x3
	v_lshrrev_b32_e32 v60, 16, v58
	s_wait_dscnt 0x2
	v_lshrrev_b32_e32 v63, 16, v59
	;; [unrolled: 2-line block ×4, first 2 shown]
.LBB0_27:
	s_wait_alu 0xfffe
	s_or_b32 exec_lo, exec_lo, s1
	s_wait_dscnt 0x1
	v_lshrrev_b32_e32 v64, 16, v30
	v_lshrrev_b32_e32 v61, 16, v32
	s_wait_dscnt 0x0
	v_lshrrev_b32_e32 v65, 16, v28
	v_mul_f16_e32 v103, v75, v30
	v_lshrrev_b32_e32 v67, 16, v33
	v_mul_f16_e32 v101, v75, v64
	v_mul_f16_e32 v79, v74, v61
	v_lshrrev_b32_e32 v68, 16, v31
	v_mul_f16_e32 v80, v74, v32
	v_lshrrev_b32_e32 v102, 16, v29
	v_fmac_f16_e32 v101, v17, v30
	v_mul_f16_e32 v30, v73, v65
	v_fmac_f16_e32 v79, v16, v32
	v_fma_f16 v32, v16, v61, -v80
	v_fma_f16 v61, v17, v64, -v103
	v_mul_f16_e32 v64, v73, v28
	v_fmac_f16_e32 v30, v18, v28
	v_mul_f16_e32 v80, v74, v67
	v_mul_f16_e32 v103, v74, v33
	;; [unrolled: 1-line block ×3, first 2 shown]
	v_fma_f16 v64, v18, v65, -v64
	v_sub_f16_e32 v30, v79, v30
	v_fmac_f16_e32 v80, v16, v33
	v_fma_f16 v33, v16, v67, -v103
	v_sub_f16_e32 v65, v26, v101
	v_fmac_f16_e32 v28, v17, v31
	v_mul_f16_e32 v31, v75, v31
	v_fma_f16 v67, v79, 2.0, -v30
	v_mul_f16_e32 v79, v73, v102
	v_mul_f16_e32 v101, v73, v29
	v_lshrrev_b32_e32 v56, 16, v26
	v_lshrrev_b32_e32 v66, 16, v27
	v_fma_f16 v31, v17, v68, -v31
	v_fmac_f16_e32 v79, v18, v29
	v_fma_f16 v29, v18, v102, -v101
	v_sub_f16_e32 v61, v56, v61
	v_sub_f16_e32 v64, v32, v64
	;; [unrolled: 1-line block ×6, first 2 shown]
	v_fma_f16 v26, v26, 2.0, -v65
	v_fma_f16 v56, v56, 2.0, -v61
	;; [unrolled: 1-line block ×7, first 2 shown]
	v_sub_f16_e32 v67, v26, v67
	v_sub_f16_e32 v32, v56, v32
	v_add_f16_e32 v64, v65, v64
	v_sub_f16_e32 v30, v61, v30
	v_sub_f16_e32 v79, v27, v79
	v_sub_f16_e32 v33, v66, v33
	v_add_f16_e32 v29, v28, v29
	v_sub_f16_e32 v68, v31, v68
	v_fma_f16 v26, v26, 2.0, -v67
	v_fma_f16 v56, v56, 2.0, -v32
	;; [unrolled: 1-line block ×8, first 2 shown]
	v_pack_b32_f16 v26, v26, v56
	v_pack_b32_f16 v56, v65, v61
	;; [unrolled: 1-line block ×8, first 2 shown]
	global_wb scope:SCOPE_SE
	s_barrier_signal -1
	s_barrier_wait -1
	global_inv scope:SCOPE_SE
	ds_store_2addr_b32 v77, v26, v56 offset1:4
	ds_store_2addr_b32 v77, v32, v30 offset0:8 offset1:12
	ds_store_2addr_b32 v76, v27, v28 offset1:4
	ds_store_2addr_b32 v76, v31, v29 offset0:8 offset1:12
	s_and_saveexec_b32 s1, s0
	s_cbranch_execz .LBB0_29
; %bb.28:
	v_mul_f16_e32 v26, v75, v72
	v_mul_f16_e32 v27, v74, v59
	;; [unrolled: 1-line block ×6, first 2 shown]
	v_fmac_f16_e32 v26, v17, v71
	v_fma_f16 v27, v16, v63, -v27
	v_fmac_f16_e32 v29, v16, v59
	v_fmac_f16_e32 v30, v18, v62
	v_fma_f16 v16, v17, v72, -v28
	v_fma_f16 v17, v18, v70, -v31
	v_sub_f16_e32 v18, v58, v26
	v_and_or_b32 v31, 0xff0, v69, v57
	v_sub_f16_e32 v26, v29, v30
	v_sub_f16_e32 v16, v60, v16
	;; [unrolled: 1-line block ×3, first 2 shown]
	v_fma_f16 v28, v58, 2.0, -v18
	v_lshlrev_b32_e32 v31, 2, v31
	v_fma_f16 v29, v29, 2.0, -v26
	v_fma_f16 v30, v60, 2.0, -v16
	;; [unrolled: 1-line block ×3, first 2 shown]
	v_add_f16_e32 v17, v18, v17
	v_sub_f16_e32 v26, v16, v26
	v_sub_f16_e32 v29, v28, v29
	s_delay_alu instid0(VALU_DEP_4) | instskip(NEXT) | instid1(VALU_DEP_4)
	v_sub_f16_e32 v27, v30, v27
	v_fma_f16 v18, v18, 2.0, -v17
	s_delay_alu instid0(VALU_DEP_4) | instskip(NEXT) | instid1(VALU_DEP_4)
	v_fma_f16 v16, v16, 2.0, -v26
	v_fma_f16 v28, v28, 2.0, -v29
	v_pack_b32_f16 v17, v17, v26
	v_fma_f16 v30, v30, 2.0, -v27
	s_delay_alu instid0(VALU_DEP_4) | instskip(SKIP_1) | instid1(VALU_DEP_3)
	v_pack_b32_f16 v16, v18, v16
	v_pack_b32_f16 v18, v29, v27
	;; [unrolled: 1-line block ×3, first 2 shown]
	ds_store_2addr_b32 v31, v28, v16 offset1:4
	ds_store_2addr_b32 v31, v18, v17 offset0:8 offset1:12
.LBB0_29:
	s_wait_alu 0xfffe
	s_or_b32 exec_lo, exec_lo, s1
	v_add_nc_u32_e32 v16, 0x500, v34
	global_wb scope:SCOPE_SE
	s_wait_dscnt 0x0
	s_barrier_signal -1
	s_barrier_wait -1
	global_inv scope:SCOPE_SE
	ds_load_2addr_b32 v[27:28], v34 offset1:176
	ds_load_2addr_b32 v[29:30], v16 offset0:32 offset1:208
	v_add_nc_u32_e32 v17, 0xa00, v34
	v_add_nc_u32_e32 v18, 0x1000, v34
	;; [unrolled: 1-line block ×3, first 2 shown]
	ds_load_b32 v33, v34 offset:7040
	ds_load_2addr_b32 v[31:32], v17 offset0:64 offset1:240
	ds_load_2addr_b32 v[56:57], v18 offset0:32 offset1:208
	ds_load_2addr_b32 v[58:59], v26 offset1:176
	global_wb scope:SCOPE_SE
	s_wait_dscnt 0x0
	s_barrier_signal -1
	s_barrier_wait -1
	global_inv scope:SCOPE_SE
	s_mov_b32 s10, 0x6be69c90
	s_mov_b32 s11, 0x3f40ecf5
	v_lshrrev_b32_e32 v61, 16, v28
	v_mul_f16_e32 v63, v100, v28
	v_lshrrev_b32_e32 v64, 16, v29
	v_lshrrev_b32_e32 v60, 16, v27
	;; [unrolled: 1-line block ×5, first 2 shown]
	v_mul_f16_e32 v72, v100, v61
	v_fma_f16 v61, v4, v61, -v63
	v_mul_f16_e32 v63, v99, v29
	v_mul_f16_e32 v74, v99, v64
	v_lshrrev_b32_e32 v68, 16, v56
	v_fmac_f16_e32 v72, v4, v28
	v_mul_f16_e32 v73, v98, v30
	v_fma_f16 v28, v5, v64, -v63
	v_mul_f16_e32 v63, v97, v66
	v_fmac_f16_e32 v74, v5, v29
	v_mul_f16_e32 v5, v97, v31
	v_mul_f16_e32 v29, v96, v67
	v_mul_f16_e32 v4, v98, v65
	v_fmac_f16_e32 v63, v7, v31
	v_add_f16_e32 v31, v27, v72
	v_fma_f16 v5, v7, v66, -v5
	v_mul_f16_e32 v7, v96, v32
	v_fmac_f16_e32 v29, v0, v32
	v_add_f16_e32 v32, v60, v61
	v_fmac_f16_e32 v4, v6, v30
	v_fma_f16 v6, v6, v65, -v73
	v_mul_f16_e32 v30, v95, v68
	v_fma_f16 v0, v0, v67, -v7
	v_mul_f16_e32 v7, v95, v56
	v_add_f16_e32 v31, v31, v74
	v_add_f16_e32 v32, v32, v28
	v_fmac_f16_e32 v30, v1, v56
	v_lshrrev_b32_e32 v69, 16, v57
	v_fma_f16 v1, v1, v68, -v7
	v_add_f16_e32 v7, v31, v4
	v_add_f16_e32 v31, v32, v6
	v_lshrrev_b32_e32 v70, 16, v58
	v_lshrrev_b32_e32 v71, 16, v59
	v_mul_f16_e32 v56, v94, v69
	v_mul_f16_e32 v64, v94, v57
	v_add_f16_e32 v31, v31, v5
	v_mul_f16_e32 v32, v93, v70
	v_add_f16_e32 v7, v7, v63
	v_fmac_f16_e32 v56, v2, v57
	v_fma_f16 v2, v2, v69, -v64
	v_add_f16_e32 v31, v31, v0
	v_mul_f16_e32 v57, v93, v58
	v_mul_f16_e32 v64, v91, v71
	v_lshrrev_b32_e32 v62, 16, v33
	v_fmac_f16_e32 v32, v3, v58
	v_add_f16_e32 v31, v31, v1
	v_add_f16_e32 v7, v7, v29
	v_fma_f16 v3, v3, v70, -v57
	v_fmac_f16_e32 v64, v22, v59
	v_mul_f16_e32 v57, v92, v33
	v_mul_f16_e32 v59, v91, v59
	v_add_f16_e32 v31, v31, v2
	v_add_f16_e32 v7, v7, v30
	v_mul_f16_e32 v58, v92, v62
	v_fma_f16 v57, v23, v62, -v57
	v_fma_f16 v22, v22, v71, -v59
	v_add_f16_e32 v31, v31, v3
	v_add_f16_e32 v7, v7, v56
	v_fmac_f16_e32 v58, v23, v33
	v_sub_f16_e32 v23, v61, v57
	v_add_f16_e32 v59, v61, v57
	v_add_f16_e32 v31, v31, v22
	;; [unrolled: 1-line block ×4, first 2 shown]
	v_mul_f16_e32 v61, 0xb853, v23
	v_sub_f16_e32 v62, v72, v58
	v_mul_f16_e32 v65, 0x3abb, v59
	v_add_f16_e32 v31, v31, v57
	v_mul_f16_e32 v57, 0xbb47, v23
	v_mul_f16_e32 v68, 0x36a6, v59
	v_mul_f16_e32 v69, 0xbbeb, v23
	v_mul_f16_e32 v71, 0xb08e, v59
	v_mul_f16_e32 v75, 0xba0c, v23
	v_mul_f16_e32 v76, 0xb93d, v59
	v_mul_f16_e32 v23, 0xb482, v23
	v_mul_f16_e32 v59, 0xbbad, v59
	v_sub_f16_e32 v91, v28, v22
	v_add_f16_e32 v7, v7, v64
	v_fmamk_f16 v66, v33, 0x3abb, v61
	v_fma_f16 v61, v33, 0x3abb, -v61
	v_fmamk_f16 v67, v33, 0x36a6, v57
	v_fma_f16 v57, v33, 0x36a6, -v57
	;; [unrolled: 2-line block ×4, first 2 shown]
	v_fmamk_f16 v80, v33, 0xbbad, v23
	v_fmamk_f16 v92, v62, 0x3482, v59
	v_fma_f16 v23, v33, 0xbbad, -v23
	v_add_f16_e32 v22, v28, v22
	v_add_f16_e32 v28, v74, v64
	v_mul_f16_e32 v33, 0xbb47, v91
	v_add_f16_e32 v7, v7, v58
	v_fmamk_f16 v58, v62, 0x3853, v65
	v_add_f16_e32 v66, v27, v66
	v_fmac_f16_e32 v65, 0xb853, v62
	v_fmamk_f16 v70, v62, 0x3b47, v68
	v_fmac_f16_e32 v68, 0xbb47, v62
	v_fmamk_f16 v73, v62, 0x3beb, v71
	;; [unrolled: 2-line block ×3, first 2 shown]
	v_fmac_f16_e32 v76, 0xba0c, v62
	v_fmac_f16_e32 v59, 0xb482, v62
	v_sub_f16_e32 v62, v74, v64
	v_mul_f16_e32 v64, 0x36a6, v22
	v_add_f16_e32 v74, v60, v92
	v_fmamk_f16 v92, v28, 0x36a6, v33
	v_add_f16_e32 v58, v60, v58
	v_add_f16_e32 v61, v27, v61
	;; [unrolled: 1-line block ×18, first 2 shown]
	v_fmamk_f16 v59, v62, 0x3b47, v64
	v_mul_f16_e32 v60, 0xba0c, v91
	v_add_f16_e32 v66, v92, v66
	v_fma_f16 v33, v28, 0x36a6, -v33
	v_fmac_f16_e32 v64, 0xbb47, v62
	v_mul_f16_e32 v92, 0xb93d, v22
	v_add_f16_e32 v58, v59, v58
	v_fmamk_f16 v59, v28, 0xb93d, v60
	v_add_f16_e32 v33, v33, v61
	v_add_f16_e32 v61, v64, v65
	v_mul_f16_e32 v64, 0x3482, v91
	v_fmamk_f16 v65, v62, 0x3a0c, v92
	v_fma_f16 v60, v28, 0xb93d, -v60
	v_fmac_f16_e32 v92, 0xba0c, v62
	v_mul_f16_e32 v93, 0xbbad, v22
	v_add_f16_e32 v59, v59, v67
	v_fmamk_f16 v67, v28, 0xbbad, v64
	v_add_f16_e32 v65, v65, v70
	v_add_f16_e32 v57, v60, v57
	;; [unrolled: 1-line block ×3, first 2 shown]
	v_fmamk_f16 v68, v62, 0xb482, v93
	v_mul_f16_e32 v70, 0x3beb, v91
	v_add_f16_e32 v67, v67, v72
	v_fma_f16 v64, v28, 0xbbad, -v64
	v_mul_f16_e32 v72, 0xb08e, v22
	v_add_f16_e32 v68, v68, v73
	v_fmamk_f16 v73, v28, 0xb08e, v70
	v_mul_f16_e32 v91, 0x3853, v91
	v_fma_f16 v70, v28, 0xb08e, -v70
	v_add_f16_e32 v64, v64, v69
	v_fmamk_f16 v69, v62, 0xbbeb, v72
	v_add_f16_e32 v73, v73, v77
	v_fmac_f16_e32 v72, 0x3beb, v62
	v_fmamk_f16 v77, v28, 0x3abb, v91
	v_add_f16_e32 v70, v70, v75
	v_sub_f16_e32 v75, v6, v3
	v_add_f16_e32 v69, v69, v79
	v_mul_f16_e32 v22, 0x3abb, v22
	v_add_f16_e32 v72, v72, v76
	v_add_f16_e32 v76, v77, v80
	;; [unrolled: 1-line block ×3, first 2 shown]
	v_mul_f16_e32 v80, 0xbbeb, v75
	v_add_f16_e32 v3, v6, v3
	v_fmamk_f16 v77, v62, 0xb853, v22
	v_fma_f16 v6, v28, 0x3abb, -v91
	v_fmac_f16_e32 v22, 0x3853, v62
	v_sub_f16_e32 v4, v4, v32
	v_fmamk_f16 v28, v79, 0xb08e, v80
	v_mul_f16_e32 v32, 0xb08e, v3
	v_fmac_f16_e32 v93, 0x3482, v62
	v_add_f16_e32 v62, v77, v74
	v_add_f16_e32 v6, v6, v23
	v_add_f16_e32 v22, v22, v27
	v_add_f16_e32 v23, v28, v66
	v_fmamk_f16 v27, v4, 0x3beb, v32
	v_mul_f16_e32 v28, 0x3482, v75
	v_fma_f16 v66, v79, 0xb08e, -v80
	v_fmac_f16_e32 v32, 0xbbeb, v4
	v_mul_f16_e32 v74, 0xbbad, v3
	v_add_f16_e32 v27, v27, v58
	v_fmamk_f16 v58, v79, 0xbbad, v28
	v_add_f16_e32 v33, v66, v33
	v_add_f16_e32 v32, v32, v61
	v_fmamk_f16 v61, v4, 0xb482, v74
	v_mul_f16_e32 v66, 0x3b47, v75
	v_add_f16_e32 v58, v58, v59
	v_fma_f16 v28, v79, 0xbbad, -v28
	v_fmac_f16_e32 v74, 0x3482, v4
	v_add_f16_e32 v59, v61, v65
	v_fmamk_f16 v61, v79, 0x36a6, v66
	v_mul_f16_e32 v65, 0x36a6, v3
	v_add_f16_e32 v28, v28, v57
	v_add_f16_e32 v57, v74, v60
	v_mul_f16_e32 v60, 0xb853, v75
	v_add_f16_e32 v61, v61, v67
	v_fmamk_f16 v67, v4, 0xbb47, v65
	v_mul_f16_e32 v77, 0x3abb, v3
	v_add_f16_e32 v71, v93, v71
	v_fma_f16 v66, v79, 0x36a6, -v66
	v_fmac_f16_e32 v65, 0x3b47, v4
	v_fmamk_f16 v74, v79, 0x3abb, v60
	v_add_f16_e32 v67, v67, v68
	v_fmamk_f16 v68, v4, 0x3853, v77
	v_mul_f16_e32 v3, 0xb93d, v3
	v_fma_f16 v60, v79, 0x3abb, -v60
	v_fmac_f16_e32 v77, 0xb853, v4
	v_add_f16_e32 v64, v66, v64
	v_add_f16_e32 v65, v65, v71
	;; [unrolled: 1-line block ×3, first 2 shown]
	v_mul_f16_e32 v71, 0xba0c, v75
	v_fmamk_f16 v73, v4, 0x3a0c, v3
	v_add_f16_e32 v60, v60, v70
	v_add_f16_e32 v70, v77, v72
	v_sub_f16_e32 v72, v5, v2
	v_add_f16_e32 v2, v5, v2
	v_add_f16_e32 v68, v68, v69
	v_fmamk_f16 v69, v79, 0xb93d, v71
	v_add_f16_e32 v62, v73, v62
	v_add_f16_e32 v73, v63, v56
	v_mul_f16_e32 v5, 0xba0c, v72
	v_fma_f16 v71, v79, 0xb93d, -v71
	v_fmac_f16_e32 v3, 0xba0c, v4
	v_sub_f16_e32 v4, v63, v56
	v_mul_f16_e32 v56, 0xb93d, v2
	v_fmamk_f16 v63, v73, 0xb93d, v5
	v_add_f16_e32 v6, v71, v6
	v_add_f16_e32 v3, v3, v22
	v_mul_f16_e32 v22, 0x3beb, v72
	v_fmamk_f16 v71, v4, 0x3a0c, v56
	v_add_f16_e32 v23, v63, v23
	v_fma_f16 v5, v73, 0xb93d, -v5
	v_fmac_f16_e32 v56, 0xba0c, v4
	v_fmamk_f16 v63, v73, 0xb08e, v22
	v_add_f16_e32 v27, v71, v27
	v_mul_f16_e32 v71, 0xb08e, v2
	v_add_f16_e32 v5, v5, v33
	v_add_f16_e32 v32, v56, v32
	;; [unrolled: 1-line block ×3, first 2 shown]
	v_mul_f16_e32 v56, 0xb853, v72
	v_fmamk_f16 v58, v4, 0xbbeb, v71
	v_fma_f16 v22, v73, 0xb08e, -v22
	v_fmac_f16_e32 v71, 0x3beb, v4
	v_mul_f16_e32 v63, 0x3abb, v2
	v_fmamk_f16 v74, v73, 0x3abb, v56
	v_add_f16_e32 v58, v58, v59
	v_add_f16_e32 v22, v22, v28
	;; [unrolled: 1-line block ×3, first 2 shown]
	v_fmamk_f16 v57, v4, 0x3853, v63
	v_add_f16_e32 v59, v74, v61
	v_mul_f16_e32 v61, 0xb482, v72
	v_fma_f16 v56, v73, 0x3abb, -v56
	v_fmac_f16_e32 v63, 0xb853, v4
	v_add_f16_e32 v57, v57, v67
	v_mul_f16_e32 v67, 0xbbad, v2
	v_fmamk_f16 v71, v73, 0xbbad, v61
	v_add_f16_e32 v56, v56, v64
	v_add_f16_e32 v63, v63, v65
	v_mul_f16_e32 v64, 0x3b47, v72
	v_fmamk_f16 v65, v4, 0x3482, v67
	v_add_f16_e32 v69, v69, v76
	v_add_f16_e32 v66, v71, v66
	v_fma_f16 v61, v73, 0xbbad, -v61
	v_fmac_f16_e32 v67, 0xb482, v4
	v_fmamk_f16 v71, v73, 0x36a6, v64
	v_add_f16_e32 v65, v65, v68
	v_mul_f16_e32 v2, 0x36a6, v2
	v_sub_f16_e32 v68, v0, v1
	v_add_f16_e32 v0, v0, v1
	v_add_f16_e32 v60, v61, v60
	;; [unrolled: 1-line block ×4, first 2 shown]
	v_fmamk_f16 v69, v4, 0xbb47, v2
	v_fma_f16 v64, v73, 0x36a6, -v64
	v_add_f16_e32 v1, v29, v30
	v_mul_f16_e32 v70, 0xb482, v68
	v_fmac_f16_e32 v2, 0x3b47, v4
	v_sub_f16_e32 v4, v29, v30
	v_mul_f16_e32 v29, 0xbbad, v0
	v_add_f16_e32 v30, v69, v62
	v_fmamk_f16 v62, v1, 0xbbad, v70
	v_add_f16_e32 v6, v64, v6
	v_add_f16_e32 v2, v2, v3
	v_fmamk_f16 v3, v4, 0x3482, v29
	v_mul_f16_e32 v64, 0x3853, v68
	v_fmac_f16_e32 v29, 0xb482, v4
	v_add_f16_e32 v23, v62, v23
	v_fma_f16 v62, v1, 0xbbad, -v70
	v_add_f16_e32 v3, v3, v27
	v_fmamk_f16 v27, v1, 0x3abb, v64
	v_mul_f16_e32 v69, 0x3abb, v0
	v_add_f16_e32 v29, v29, v32
	v_mul_f16_e32 v32, 0xba0c, v68
	v_add_f16_e32 v5, v62, v5
	v_add_f16_e32 v27, v27, v33
	v_fmamk_f16 v33, v4, 0xb853, v69
	v_fma_f16 v62, v1, 0x3abb, -v64
	v_fmamk_f16 v64, v1, 0xb93d, v32
	v_mul_f16_e32 v70, 0xb93d, v0
	v_fma_f16 v32, v1, 0xb93d, -v32
	v_add_f16_e32 v33, v33, v58
	v_add_f16_e32 v22, v62, v22
	;; [unrolled: 1-line block ×3, first 2 shown]
	v_fmamk_f16 v59, v4, 0x3a0c, v70
	v_mul_f16_e32 v62, 0x3b47, v68
	v_fmac_f16_e32 v70, 0xba0c, v4
	v_mul_f16_e32 v64, 0x36a6, v0
	v_add_f16_e32 v32, v32, v56
	v_add_f16_e32 v57, v59, v57
	v_fmamk_f16 v59, v1, 0x36a6, v62
	v_add_f16_e32 v56, v70, v63
	v_fmamk_f16 v63, v4, 0xbb47, v64
	v_mul_f16_e32 v0, 0xb08e, v0
	v_fma_f16 v62, v1, 0x36a6, -v62
	v_add_f16_e32 v59, v59, v66
	v_mul_f16_e32 v66, 0xbbeb, v68
	v_add_f16_e32 v63, v63, v65
	v_fmamk_f16 v65, v4, 0x3beb, v0
	v_fmac_f16_e32 v0, 0xbbeb, v4
	v_add_f16_e32 v60, v62, v60
	v_fmac_f16_e32 v64, 0x3b47, v4
	v_fmamk_f16 v62, v1, 0xb08e, v66
	v_fma_f16 v1, v1, 0xb08e, -v66
	v_fmac_f16_e32 v69, 0x3853, v4
	v_add_f16_e32 v0, v0, v2
	v_pack_b32_f16 v2, v7, v31
	v_pack_b32_f16 v3, v23, v3
	v_add_f16_e32 v4, v64, v61
	v_add_f16_e32 v61, v62, v67
	;; [unrolled: 1-line block ×5, first 2 shown]
	ds_store_2addr_b32 v78, v2, v3 offset1:16
	v_pack_b32_f16 v2, v27, v33
	v_pack_b32_f16 v3, v58, v57
	;; [unrolled: 1-line block ×9, first 2 shown]
	ds_store_2addr_b32 v78, v2, v3 offset0:32 offset1:48
	ds_store_2addr_b32 v78, v6, v7 offset0:64 offset1:80
	;; [unrolled: 1-line block ×4, first 2 shown]
	ds_store_b32 v78, v5 offset:640
	global_wb scope:SCOPE_SE
	s_wait_dscnt 0x0
	s_barrier_signal -1
	s_barrier_wait -1
	global_inv scope:SCOPE_SE
	ds_load_2addr_b32 v[0:1], v34 offset1:176
	ds_load_2addr_b32 v[2:3], v16 offset0:32 offset1:208
	ds_load_2addr_b32 v[4:5], v17 offset0:64 offset1:240
	;; [unrolled: 1-line block ×3, first 2 shown]
	ds_load_2addr_b32 v[22:23], v26 offset1:176
	ds_load_b32 v27, v34 offset:7040
	s_wait_dscnt 0x5
	v_lshrrev_b32_e32 v29, 16, v1
	s_wait_dscnt 0x4
	v_lshrrev_b32_e32 v30, 16, v2
	v_lshrrev_b32_e32 v31, 16, v3
	s_wait_dscnt 0x3
	v_lshrrev_b32_e32 v32, 16, v4
	v_mul_f16_e32 v60, v90, v1
	v_mul_f16_e32 v59, v90, v29
	;; [unrolled: 1-line block ×3, first 2 shown]
	v_lshrrev_b32_e32 v33, 16, v5
	v_lshrrev_b32_e32 v28, 16, v0
	s_wait_dscnt 0x2
	v_lshrrev_b32_e32 v56, 16, v6
	v_fmac_f16_e32 v59, v12, v1
	v_fma_f16 v1, v12, v29, -v60
	v_mul_f16_e32 v12, v89, v2
	v_fmac_f16_e32 v62, v13, v2
	v_mul_f16_e32 v2, v88, v31
	v_mul_f16_e32 v29, v88, v3
	;; [unrolled: 1-line block ×3, first 2 shown]
	v_fma_f16 v12, v13, v30, -v12
	v_mul_f16_e32 v13, v87, v4
	v_fmac_f16_e32 v2, v14, v3
	v_fma_f16 v3, v14, v31, -v29
	v_fmac_f16_e32 v60, v15, v4
	v_mul_f16_e32 v4, v86, v33
	v_add_f16_e32 v14, v0, v59
	v_fma_f16 v13, v15, v32, -v13
	v_mul_f16_e32 v15, v86, v5
	v_mul_f16_e32 v29, v85, v56
	v_fmac_f16_e32 v4, v8, v5
	v_add_f16_e32 v5, v28, v1
	v_add_f16_e32 v14, v14, v62
	v_lshrrev_b32_e32 v57, 16, v7
	v_fmac_f16_e32 v29, v9, v6
	v_mul_f16_e32 v6, v85, v6
	v_add_f16_e32 v5, v5, v12
	v_add_f16_e32 v14, v14, v2
	s_wait_dscnt 0x1
	v_lshrrev_b32_e32 v58, 16, v22
	v_fma_f16 v8, v8, v33, -v15
	v_mul_f16_e32 v15, v84, v57
	v_mul_f16_e32 v30, v84, v7
	v_fma_f16 v6, v9, v56, -v6
	v_add_f16_e32 v5, v5, v3
	v_add_f16_e32 v9, v14, v60
	v_lshrrev_b32_e32 v61, 16, v23
	v_fmac_f16_e32 v15, v10, v7
	v_fma_f16 v7, v10, v57, -v30
	v_mul_f16_e32 v10, v83, v58
	v_add_f16_e32 v5, v5, v13
	v_add_f16_e32 v9, v9, v4
	v_mul_f16_e32 v14, v83, v22
	s_wait_dscnt 0x0
	v_lshrrev_b32_e32 v63, 16, v27
	v_mul_f16_e32 v30, v81, v61
	v_fmac_f16_e32 v10, v11, v22
	v_add_f16_e32 v5, v5, v8
	v_add_f16_e32 v9, v9, v29
	v_fma_f16 v11, v11, v58, -v14
	v_mul_f16_e32 v14, v82, v27
	v_fmac_f16_e32 v30, v24, v23
	v_add_f16_e32 v5, v5, v6
	v_add_f16_e32 v9, v9, v15
	v_mul_f16_e32 v22, v81, v23
	v_mul_f16_e32 v23, v82, v63
	v_fma_f16 v14, v25, v63, -v14
	v_add_f16_e32 v5, v5, v7
	v_add_f16_e32 v9, v9, v10
	v_fma_f16 v22, v24, v61, -v22
	v_fmac_f16_e32 v23, v25, v27
	v_sub_f16_e32 v24, v1, v14
	v_add_f16_e32 v5, v5, v11
	v_add_f16_e32 v9, v9, v30
	;; [unrolled: 1-line block ×4, first 2 shown]
	v_mul_f16_e32 v27, 0xb853, v24
	v_sub_f16_e32 v70, v12, v22
	v_add_f16_e32 v5, v5, v22
	v_sub_f16_e32 v31, v59, v23
	v_mul_f16_e32 v32, 0x3abb, v1
	v_fmamk_f16 v33, v25, 0x3abb, v27
	v_add_f16_e32 v9, v9, v23
	v_mul_f16_e32 v23, 0xbb47, v24
	v_mul_f16_e32 v57, 0x36a6, v1
	;; [unrolled: 1-line block ×8, first 2 shown]
	v_add_f16_e32 v72, v62, v30
	v_mul_f16_e32 v73, 0xbb47, v70
	v_add_f16_e32 v12, v12, v22
	v_add_f16_e32 v5, v5, v14
	v_fmamk_f16 v14, v31, 0x3853, v32
	v_add_f16_e32 v33, v0, v33
	v_fma_f16 v27, v25, 0x3abb, -v27
	v_fmac_f16_e32 v32, 0xb853, v31
	v_fmamk_f16 v56, v25, 0x36a6, v23
	v_fmamk_f16 v59, v31, 0x3b47, v57
	v_fma_f16 v23, v25, 0x36a6, -v23
	v_fmac_f16_e32 v57, 0xbb47, v31
	v_fmamk_f16 v61, v25, 0xb08e, v58
	v_fmamk_f16 v64, v31, 0x3beb, v63
	;; [unrolled: 4-line block ×4, first 2 shown]
	v_fma_f16 v22, v25, 0xbbad, -v24
	v_fmac_f16_e32 v1, 0xb482, v31
	v_sub_f16_e32 v24, v62, v30
	v_fmamk_f16 v25, v72, 0x36a6, v73
	v_mul_f16_e32 v30, 0x36a6, v12
	v_add_f16_e32 v14, v28, v14
	v_add_f16_e32 v27, v0, v27
	;; [unrolled: 1-line block ×20, first 2 shown]
	v_fmamk_f16 v25, v24, 0x3b47, v30
	v_mul_f16_e32 v28, 0xba0c, v70
	v_fma_f16 v33, v72, 0x36a6, -v73
	v_fmac_f16_e32 v30, 0xbb47, v24
	v_mul_f16_e32 v62, 0xb93d, v12
	v_add_f16_e32 v14, v25, v14
	v_fmamk_f16 v25, v72, 0xb93d, v28
	v_add_f16_e32 v27, v33, v27
	v_add_f16_e32 v30, v30, v32
	v_fmamk_f16 v32, v24, 0x3a0c, v62
	v_mul_f16_e32 v33, 0x3482, v70
	v_fma_f16 v28, v72, 0xb93d, -v28
	v_fmac_f16_e32 v62, 0xba0c, v24
	v_add_f16_e32 v25, v25, v56
	v_add_f16_e32 v32, v32, v59
	v_fmamk_f16 v56, v72, 0xbbad, v33
	v_mul_f16_e32 v59, 0xbbad, v12
	v_add_f16_e32 v23, v28, v23
	v_add_f16_e32 v28, v62, v57
	v_mul_f16_e32 v57, 0x3beb, v70
	v_add_f16_e32 v56, v56, v61
	v_fmamk_f16 v61, v24, 0xb482, v59
	v_fma_f16 v33, v72, 0xbbad, -v33
	v_fmac_f16_e32 v59, 0x3482, v24
	v_fmamk_f16 v62, v72, 0xb08e, v57
	v_mul_f16_e32 v71, 0xb08e, v12
	v_mul_f16_e32 v12, 0x3abb, v12
	v_add_f16_e32 v33, v33, v58
	v_add_f16_e32 v58, v59, v63
	;; [unrolled: 1-line block ×3, first 2 shown]
	v_fmamk_f16 v62, v24, 0xbbeb, v71
	v_fma_f16 v57, v72, 0xb08e, -v57
	v_fmac_f16_e32 v71, 0x3beb, v24
	v_mul_f16_e32 v63, 0x3853, v70
	v_fmamk_f16 v67, v24, 0xb853, v12
	v_add_f16_e32 v61, v61, v64
	v_add_f16_e32 v57, v57, v65
	;; [unrolled: 1-line block ×3, first 2 shown]
	v_sub_f16_e32 v66, v3, v11
	v_add_f16_e32 v3, v3, v11
	v_fmamk_f16 v64, v72, 0x3abb, v63
	v_add_f16_e32 v31, v67, v31
	v_add_f16_e32 v67, v2, v10
	v_mul_f16_e32 v11, 0xbbeb, v66
	v_fma_f16 v63, v72, 0x3abb, -v63
	v_fmac_f16_e32 v12, 0x3853, v24
	v_sub_f16_e32 v2, v2, v10
	v_mul_f16_e32 v10, 0xb08e, v3
	v_fmamk_f16 v24, v67, 0xb08e, v11
	v_add_f16_e32 v0, v63, v0
	v_add_f16_e32 v1, v12, v1
	v_mul_f16_e32 v12, 0x3482, v66
	v_fmamk_f16 v63, v2, 0x3beb, v10
	v_add_f16_e32 v22, v24, v22
	v_fma_f16 v11, v67, 0xb08e, -v11
	v_fmac_f16_e32 v10, 0xbbeb, v2
	v_fmamk_f16 v24, v67, 0xbbad, v12
	v_add_f16_e32 v14, v63, v14
	v_mul_f16_e32 v63, 0xbbad, v3
	v_add_f16_e32 v11, v11, v27
	v_add_f16_e32 v10, v10, v30
	;; [unrolled: 1-line block ×3, first 2 shown]
	v_mul_f16_e32 v25, 0x3b47, v66
	v_fmamk_f16 v27, v2, 0xb482, v63
	v_fma_f16 v12, v67, 0xbbad, -v12
	v_fmac_f16_e32 v63, 0x3482, v2
	v_mul_f16_e32 v30, 0x36a6, v3
	v_add_f16_e32 v62, v62, v68
	v_fmamk_f16 v68, v67, 0x36a6, v25
	v_add_f16_e32 v12, v12, v23
	v_add_f16_e32 v23, v63, v28
	v_fmamk_f16 v28, v2, 0xbb47, v30
	v_add_f16_e32 v27, v27, v32
	v_add_f16_e32 v32, v68, v56
	v_mul_f16_e32 v56, 0xb853, v66
	v_fma_f16 v25, v67, 0x36a6, -v25
	v_fmac_f16_e32 v30, 0x3b47, v2
	v_add_f16_e32 v28, v28, v61
	v_mul_f16_e32 v61, 0x3abb, v3
	v_fmamk_f16 v63, v67, 0x3abb, v56
	v_add_f16_e32 v25, v25, v33
	v_add_f16_e32 v30, v30, v58
	v_mul_f16_e32 v33, 0xba0c, v66
	v_fmamk_f16 v58, v2, 0x3853, v61
	v_add_f16_e32 v64, v64, v69
	v_add_f16_e32 v59, v63, v59
	v_fma_f16 v56, v67, 0x3abb, -v56
	v_fmac_f16_e32 v61, 0xb853, v2
	v_fmamk_f16 v63, v67, 0xb93d, v33
	v_add_f16_e32 v58, v58, v62
	v_mul_f16_e32 v3, 0xb93d, v3
	v_sub_f16_e32 v62, v13, v7
	v_add_f16_e32 v7, v13, v7
	v_add_f16_e32 v56, v56, v57
	;; [unrolled: 1-line block ×4, first 2 shown]
	v_fmamk_f16 v63, v2, 0x3a0c, v3
	v_fma_f16 v33, v67, 0xb93d, -v33
	v_add_f16_e32 v13, v60, v15
	v_mul_f16_e32 v64, 0xba0c, v62
	v_fmac_f16_e32 v3, 0xba0c, v2
	v_sub_f16_e32 v2, v60, v15
	v_mul_f16_e32 v15, 0xb93d, v7
	v_add_f16_e32 v0, v33, v0
	v_fmamk_f16 v60, v13, 0xb93d, v64
	v_add_f16_e32 v1, v3, v1
	v_mul_f16_e32 v33, 0x3beb, v62
	v_fmamk_f16 v3, v2, 0x3a0c, v15
	v_fmac_f16_e32 v15, 0xba0c, v2
	v_add_f16_e32 v31, v63, v31
	v_add_f16_e32 v22, v60, v22
	v_fma_f16 v60, v13, 0xb93d, -v64
	v_add_f16_e32 v3, v3, v14
	v_fmamk_f16 v14, v13, 0xb08e, v33
	v_mul_f16_e32 v63, 0xb08e, v7
	v_add_f16_e32 v10, v15, v10
	v_mul_f16_e32 v15, 0xb853, v62
	v_add_f16_e32 v11, v60, v11
	v_add_f16_e32 v14, v14, v24
	v_fmamk_f16 v24, v2, 0xbbeb, v63
	v_fma_f16 v33, v13, 0xb08e, -v33
	v_fmamk_f16 v60, v13, 0x3abb, v15
	v_mul_f16_e32 v64, 0x3abb, v7
	v_fma_f16 v15, v13, 0x3abb, -v15
	v_add_f16_e32 v24, v24, v27
	v_add_f16_e32 v12, v33, v12
	;; [unrolled: 1-line block ×3, first 2 shown]
	v_fmamk_f16 v32, v2, 0x3853, v64
	v_mul_f16_e32 v33, 0xb482, v62
	v_mul_f16_e32 v60, 0xbbad, v7
	v_add_f16_e32 v15, v15, v25
	v_mul_f16_e32 v62, 0x3b47, v62
	v_add_f16_e32 v28, v32, v28
	v_fmamk_f16 v32, v13, 0xbbad, v33
	v_fmamk_f16 v25, v2, 0x3482, v60
	v_fma_f16 v33, v13, 0xbbad, -v33
	v_fmac_f16_e32 v60, 0xb482, v2
	v_mul_f16_e32 v7, 0x36a6, v7
	v_fmac_f16_e32 v63, 0x3beb, v2
	v_add_f16_e32 v25, v25, v58
	v_fmamk_f16 v58, v13, 0x36a6, v62
	v_add_f16_e32 v33, v33, v56
	v_sub_f16_e32 v56, v8, v6
	v_add_f16_e32 v57, v60, v57
	v_add_f16_e32 v60, v4, v29
	;; [unrolled: 1-line block ×4, first 2 shown]
	v_mul_f16_e32 v61, 0xb482, v56
	v_fmac_f16_e32 v64, 0xb853, v2
	v_add_f16_e32 v32, v32, v59
	v_fmamk_f16 v59, v2, 0xbb47, v7
	v_fma_f16 v8, v13, 0x36a6, -v62
	v_fmac_f16_e32 v7, 0x3b47, v2
	v_sub_f16_e32 v2, v4, v29
	v_fmamk_f16 v4, v60, 0xbbad, v61
	v_mul_f16_e32 v13, 0xbbad, v6
	v_add_f16_e32 v29, v59, v31
	v_add_f16_e32 v0, v8, v0
	v_add_f16_e32 v1, v7, v1
	v_add_f16_e32 v4, v4, v22
	v_fmamk_f16 v7, v2, 0x3482, v13
	v_mul_f16_e32 v8, 0x3853, v56
	v_fma_f16 v22, v60, 0xbbad, -v61
	v_fmac_f16_e32 v13, 0xb482, v2
	v_mul_f16_e32 v31, 0x3abb, v6
	v_add_f16_e32 v3, v7, v3
	v_fmamk_f16 v7, v60, 0x3abb, v8
	v_add_f16_e32 v11, v22, v11
	v_add_f16_e32 v10, v13, v10
	v_fmamk_f16 v13, v2, 0xb853, v31
	v_mul_f16_e32 v22, 0xba0c, v56
	v_add_f16_e32 v23, v63, v23
	v_add_f16_e32 v7, v7, v14
	v_fma_f16 v8, v60, 0x3abb, -v8
	v_fmac_f16_e32 v31, 0x3853, v2
	v_add_f16_e32 v13, v13, v24
	v_fmamk_f16 v14, v60, 0xb93d, v22
	v_mul_f16_e32 v24, 0xb93d, v6
	v_add_f16_e32 v30, v64, v30
	v_add_f16_e32 v8, v8, v12
	;; [unrolled: 1-line block ×3, first 2 shown]
	v_mul_f16_e32 v23, 0x3b47, v56
	v_add_f16_e32 v14, v14, v27
	v_fmamk_f16 v27, v2, 0x3a0c, v24
	v_fma_f16 v22, v60, 0xb93d, -v22
	v_fmac_f16_e32 v24, 0xba0c, v2
	v_fmamk_f16 v31, v60, 0x36a6, v23
	v_mul_f16_e32 v59, 0x36a6, v6
	v_mul_f16_e32 v6, 0xb08e, v6
	v_add_f16_e32 v15, v22, v15
	v_add_f16_e32 v22, v24, v30
	v_mul_f16_e32 v30, 0xbbeb, v56
	v_add_f16_e32 v27, v27, v28
	v_add_f16_e32 v24, v31, v32
	v_fmamk_f16 v28, v2, 0xbb47, v59
	v_fmamk_f16 v32, v2, 0x3beb, v6
	v_fmamk_f16 v31, v60, 0xb08e, v30
	v_fma_f16 v23, v60, 0x36a6, -v23
	v_fmac_f16_e32 v59, 0x3b47, v2
	v_fma_f16 v30, v60, 0xb08e, -v30
	v_fmac_f16_e32 v6, 0xbbeb, v2
	v_pack_b32_f16 v2, v9, v5
	v_pack_b32_f16 v3, v4, v3
	v_add_f16_e32 v25, v28, v25
	v_add_f16_e32 v4, v31, v58
	;; [unrolled: 1-line block ×7, first 2 shown]
	ds_store_2addr_b32 v34, v2, v3 offset1:176
	v_pack_b32_f16 v2, v7, v13
	v_pack_b32_f16 v3, v14, v27
	;; [unrolled: 1-line block ×9, first 2 shown]
	ds_store_2addr_b32 v16, v2, v3 offset0:32 offset1:208
	ds_store_2addr_b32 v17, v6, v4 offset0:64 offset1:240
	;; [unrolled: 1-line block ×3, first 2 shown]
	ds_store_2addr_b32 v26, v5, v7 offset1:176
	ds_store_b32 v34, v8 offset:7040
	global_wb scope:SCOPE_SE
	s_wait_dscnt 0x0
	s_barrier_signal -1
	s_barrier_wait -1
	global_inv scope:SCOPE_SE
	ds_load_2addr_b32 v[0:1], v34 offset1:176
	s_wait_dscnt 0x0
	v_lshrrev_b32_e32 v4, 16, v0
	s_delay_alu instid0(VALU_DEP_1) | instskip(NEXT) | instid1(VALU_DEP_1)
	v_mul_f16_e32 v2, v55, v4
	v_fmac_f16_e32 v2, v54, v0
	v_mul_f16_e32 v0, v55, v0
	s_delay_alu instid0(VALU_DEP_2) | instskip(NEXT) | instid1(VALU_DEP_2)
	v_cvt_f32_f16_e32 v2, v2
	v_fma_f16 v0, v54, v4, -v0
	s_delay_alu instid0(VALU_DEP_2) | instskip(NEXT) | instid1(VALU_DEP_2)
	v_cvt_f64_f32_e32 v[2:3], v2
	v_cvt_f32_f16_e32 v0, v0
	s_delay_alu instid0(VALU_DEP_1) | instskip(SKIP_4) | instid1(VALU_DEP_1)
	v_cvt_f64_f32_e32 v[4:5], v0
	v_add_nc_u32_e32 v0, 0xe00, v34
	ds_load_2addr_b32 v[6:7], v0 offset0:72 offset1:248
	s_wait_dscnt 0x0
	v_lshrrev_b32_e32 v0, 16, v6
	v_mul_f16_e32 v8, v53, v0
	s_wait_alu 0xfffe
	v_mul_f64_e32 v[2:3], s[10:11], v[2:3]
	s_delay_alu instid0(VALU_DEP_2) | instskip(SKIP_2) | instid1(VALU_DEP_3)
	v_fmac_f16_e32 v8, v51, v6
	v_mul_f16_e32 v6, v53, v6
	v_mul_f64_e32 v[4:5], s[10:11], v[4:5]
	v_cvt_f32_f16_e32 v8, v8
	s_delay_alu instid0(VALU_DEP_3) | instskip(NEXT) | instid1(VALU_DEP_1)
	v_fma_f16 v0, v51, v0, -v6
	v_cvt_f32_f16_e32 v0, v0
	v_and_or_b32 v2, 0x1ff, v3, v2
	v_lshrrev_b32_e32 v9, 8, v3
	v_bfe_u32 v10, v3, 20, 11
	s_delay_alu instid0(VALU_DEP_3)
	v_cmp_ne_u32_e64 s0, 0, v2
	v_and_or_b32 v4, 0x1ff, v5, v4
	v_lshrrev_b32_e32 v14, 8, v5
	v_bfe_u32 v15, v5, 20, 11
	v_add_nc_u32_e32 v17, 0xfffffc10, v10
	s_wait_alu 0xf1ff
	v_cndmask_b32_e64 v2, 0, 1, s0
	v_cmp_ne_u32_e64 s0, 0, v4
	v_lshrrev_b32_e32 v5, 16, v5
	v_add_nc_u32_e32 v23, 0xfffffc10, v15
	v_cmp_eq_u32_e64 s2, 0x40f, v17
	v_and_or_b32 v2, 0xffe, v9, v2
	v_sub_nc_u32_e32 v9, 0x3f1, v10
	s_wait_alu 0xf1ff
	v_cndmask_b32_e64 v4, 0, 1, s0
	s_delay_alu instid0(VALU_DEP_3) | instskip(NEXT) | instid1(VALU_DEP_3)
	v_or_b32_e32 v11, 0x1000, v2
	v_med3_i32 v12, v9, 0, 13
	v_cvt_f64_f32_e32 v[8:9], v8
	s_delay_alu instid0(VALU_DEP_4) | instskip(NEXT) | instid1(VALU_DEP_3)
	v_and_or_b32 v4, 0xffe, v14, v4
	v_lshrrev_b32_e32 v13, v12, v11
	s_delay_alu instid0(VALU_DEP_2) | instskip(NEXT) | instid1(VALU_DEP_2)
	v_or_b32_e32 v14, 0x1000, v4
	v_lshlrev_b32_e32 v12, v12, v13
	s_delay_alu instid0(VALU_DEP_1) | instskip(SKIP_3) | instid1(VALU_DEP_3)
	v_cmp_ne_u32_e64 s0, v12, v11
	v_sub_nc_u32_e32 v12, 0x3f1, v15
	v_cvt_f64_f32_e32 v[10:11], v0
	s_wait_alu 0xf1ff
	v_cndmask_b32_e64 v6, 0, 1, s0
	s_delay_alu instid0(VALU_DEP_3) | instskip(SKIP_1) | instid1(VALU_DEP_3)
	v_med3_i32 v0, v12, 0, 13
	v_cmp_gt_i32_e64 s0, 1, v17
	v_or_b32_e32 v6, v13, v6
	v_lshl_or_b32 v13, v17, 12, v2
	s_delay_alu instid0(VALU_DEP_4) | instskip(SKIP_1) | instid1(VALU_DEP_2)
	v_lshrrev_b32_e32 v18, v0, v14
	s_wait_alu 0xf1ff
	v_cndmask_b32_e64 v6, v13, v6, s0
	s_delay_alu instid0(VALU_DEP_2) | instskip(SKIP_1) | instid1(VALU_DEP_3)
	v_lshlrev_b32_e32 v0, v0, v18
	v_mad_co_u64_u32 v[12:13], null, s6, v21, 0
	v_and_b32_e32 v22, 7, v6
	s_delay_alu instid0(VALU_DEP_3) | instskip(SKIP_2) | instid1(VALU_DEP_4)
	v_cmp_ne_u32_e64 s1, v0, v14
	v_lshrrev_b32_e32 v6, 2, v6
	v_mul_f64_e32 v[8:9], s[10:11], v[8:9]
	v_cmp_lt_i32_e64 s0, 5, v22
	s_wait_alu 0xf1ff
	v_cndmask_b32_e64 v14, 0, 1, s1
	v_cmp_eq_u32_e64 s1, 3, v22
	v_mov_b32_e32 v0, v13
	s_delay_alu instid0(VALU_DEP_3) | instskip(NEXT) | instid1(VALU_DEP_3)
	v_or_b32_e32 v13, v18, v14
	s_or_b32 s0, s1, s0
	v_lshl_or_b32 v14, v23, 12, v4
	s_wait_alu 0xfffe
	v_add_co_ci_u32_e64 v6, s0, 0, v6, s0
	v_cmp_gt_i32_e64 s0, 1, v23
	v_lshrrev_b32_e32 v18, 16, v1
	v_mul_f64_e32 v[10:11], s[10:11], v[10:11]
	s_wait_alu 0xf1ff
	s_delay_alu instid0(VALU_DEP_3) | instskip(SKIP_3) | instid1(VALU_DEP_4)
	v_cndmask_b32_e64 v15, v14, v13, s0
	v_cmp_ne_u32_e64 s0, 0, v2
	v_mad_co_u64_u32 v[13:14], null, s7, v21, v[0:1]
	v_mul_f16_e32 v14, v52, v18
	v_and_b32_e32 v0, 7, v15
	s_wait_alu 0xf1ff
	v_cndmask_b32_e64 v2, 0, 1, s0
	v_cmp_gt_i32_e64 s0, 31, v17
	v_lshrrev_b32_e32 v17, 16, v3
	v_fmac_f16_e32 v14, v50, v1
	v_cmp_eq_u32_e64 s1, 3, v0
	v_lshl_or_b32 v2, v2, 9, 0x7c00
	s_wait_alu 0xf1ff
	v_cndmask_b32_e64 v6, 0x7c00, v6, s0
	v_cmp_lt_i32_e64 s0, 5, v0
	v_lshrrev_b32_e32 v0, 2, v15
	v_cvt_f32_f16_e32 v3, v14
	v_mad_co_u64_u32 v[14:15], null, s4, v48, 0
	s_delay_alu instid0(VALU_DEP_4)
	s_or_b32 s0, s1, s0
	v_cndmask_b32_e64 v6, v6, v2, s2
	s_wait_alu 0xfffe
	v_add_co_ci_u32_e64 v0, s0, 0, v0, s0
	v_cmp_gt_i32_e64 s0, 31, v23
	v_and_or_b32 v2, 0x1ff, v9, v8
	v_lshrrev_b32_e32 v21, 8, v9
	v_bfe_u32 v22, v9, 20, 11
	v_and_or_b32 v6, 0x8000, v17, v6
	s_wait_alu 0xf1ff
	v_cndmask_b32_e64 v0, 0x7c00, v0, s0
	v_cmp_ne_u32_e64 s0, 0, v4
	v_lshrrev_b32_e32 v9, 16, v9
	v_and_b32_e32 v25, 0xffff, v6
	s_wait_alu 0xf1ff
	s_delay_alu instid0(VALU_DEP_3) | instskip(SKIP_3) | instid1(VALU_DEP_4)
	v_cndmask_b32_e64 v4, 0, 1, s0
	v_cmp_ne_u32_e64 s0, 0, v2
	v_cvt_f64_f32_e32 v[2:3], v3
	v_and_or_b32 v10, 0x1ff, v11, v10
	v_lshl_or_b32 v4, v4, 9, 0x7c00
	s_wait_alu 0xf1ff
	v_cndmask_b32_e64 v8, 0, 1, s0
	v_cmp_eq_u32_e64 s0, 0x40f, v23
	s_delay_alu instid0(VALU_DEP_2) | instskip(SKIP_2) | instid1(VALU_DEP_3)
	v_and_or_b32 v8, 0xffe, v21, v8
	v_sub_nc_u32_e32 v21, 0x3f1, v22
	s_wait_alu 0xf1ff
	v_cndmask_b32_e64 v4, v0, v4, s0
	v_mov_b32_e32 v0, v15
	v_cmp_ne_u32_e64 s0, 0, v10
	v_or_b32_e32 v23, 0x1000, v8
	v_med3_i32 v21, v21, 0, 13
	v_and_or_b32 v17, 0x8000, v5, v4
	v_mad_co_u64_u32 v[4:5], null, s5, v48, v[0:1]
	v_mul_f16_e32 v0, v52, v1
	s_delay_alu instid0(VALU_DEP_4)
	v_lshrrev_b32_e32 v15, v21, v23
	s_wait_alu 0xf1ff
	v_cndmask_b32_e64 v5, 0, 1, s0
	v_lshrrev_b32_e32 v10, 8, v11
	v_lshl_or_b32 v17, v17, 16, v25
	v_fma_f16 v0, v50, v18, -v0
	v_lshlrev_b32_e32 v1, v21, v15
	v_bfe_u32 v18, v11, 20, 11
	v_and_or_b32 v10, 0xffe, v10, v5
	v_add_nc_u32_e32 v21, 0xfffffc10, v22
	v_cvt_f32_f16_e32 v0, v0
	v_cmp_ne_u32_e64 s0, v1, v23
	v_sub_nc_u32_e32 v5, 0x3f1, v18
	v_or_b32_e32 v23, 0x1000, v10
	v_lshl_or_b32 v22, v21, 12, v8
	v_lshrrev_b32_e32 v11, 16, v11
	s_wait_alu 0xf1ff
	v_cndmask_b32_e64 v1, 0, 1, s0
	v_med3_i32 v24, v5, 0, 13
	v_cmp_gt_i32_e64 s0, 1, v21
	v_mul_f64_e32 v[2:3], s[10:11], v[2:3]
	v_lshlrev_b64_e32 v[5:6], 2, v[12:13]
	v_or_b32_e32 v15, v15, v1
	v_cvt_f64_f32_e32 v[0:1], v0
	v_lshrrev_b32_e32 v26, v24, v23
	s_wait_alu 0xf1ff
	s_delay_alu instid0(VALU_DEP_3) | instskip(SKIP_1) | instid1(VALU_DEP_3)
	v_cndmask_b32_e64 v22, v22, v15, s0
	v_mov_b32_e32 v15, v4
	v_lshlrev_b32_e32 v13, v24, v26
	v_add_co_u32 v24, s0, s8, v5
	s_delay_alu instid0(VALU_DEP_4) | instskip(NEXT) | instid1(VALU_DEP_4)
	v_and_b32_e32 v12, 7, v22
	v_lshlrev_b64_e32 v[4:5], 2, v[14:15]
	s_delay_alu instid0(VALU_DEP_4)
	v_cmp_ne_u32_e64 s2, v13, v23
	s_wait_alu 0xf1ff
	v_add_co_ci_u32_e64 v6, s0, s9, v6, s0
	v_cmp_lt_i32_e64 s0, 5, v12
	v_cmp_eq_u32_e64 s1, 3, v12
	v_cndmask_b32_e64 v12, 0, 1, s2
	v_add_co_u32 v4, s2, v24, v4
	s_wait_alu 0xf1ff
	v_add_co_ci_u32_e64 v5, s2, v6, v5, s2
	v_lshrrev_b32_e32 v6, 2, v22
	v_add_nc_u32_e32 v14, 0xfffffc10, v18
	s_or_b32 s0, s1, s0
	v_or_b32_e32 v12, v26, v12
	v_lshrrev_b32_e32 v15, 16, v7
	s_wait_alu 0xfffe
	v_add_co_ci_u32_e64 v6, s0, 0, v6, s0
	v_lshl_or_b32 v13, v14, 12, v10
	v_cmp_gt_i32_e64 s0, 1, v14
	global_store_b32 v[4:5], v17, off
	s_wait_alu 0xf1ff
	v_cndmask_b32_e64 v12, v13, v12, s0
	v_cmp_ne_u32_e64 s0, 0, v8
	v_and_or_b32 v2, 0x1ff, v3, v2
	v_mul_f16_e32 v13, v49, v15
	v_mul_f64_e32 v[0:1], s[10:11], v[0:1]
	v_and_b32_e32 v18, 7, v12
	s_wait_alu 0xf1ff
	v_cndmask_b32_e64 v8, 0, 1, s0
	v_cmp_gt_i32_e64 s0, 31, v21
	v_cmp_ne_u32_e64 s1, 0, v2
	v_fmac_f16_e32 v13, v47, v7
	v_lshrrev_b32_e32 v22, 8, v3
	v_bfe_u32 v23, v3, 20, 11
	s_wait_alu 0xf1ff
	v_cndmask_b32_e64 v6, 0x7c00, v6, s0
	v_cmp_lt_i32_e64 s0, 5, v18
	v_cndmask_b32_e64 v2, 0, 1, s1
	v_cmp_eq_u32_e64 s1, 3, v18
	v_lshrrev_b32_e32 v18, 2, v12
	v_cvt_f32_f16_e32 v13, v13
	v_lshl_or_b32 v8, v8, 9, 0x7c00
	v_and_or_b32 v2, 0xffe, v22, v2
	s_or_b32 s0, s1, s0
	v_sub_nc_u32_e32 v22, 0x3f1, v23
	s_wait_alu 0xfffe
	v_add_co_ci_u32_e64 v18, s0, 0, v18, s0
	v_cmp_ne_u32_e64 s0, 0, v10
	v_cvt_f64_f32_e32 v[12:13], v13
	v_or_b32_e32 v24, 0x1000, v2
	v_med3_i32 v22, v22, 0, 13
	v_mul_f16_e32 v7, v49, v7
	s_wait_alu 0xf1ff
	v_cndmask_b32_e64 v10, 0, 1, s0
	v_cmp_gt_i32_e64 s0, 31, v14
	v_lshrrev_b32_e32 v3, 16, v3
	v_fma_f16 v7, v47, v15, -v7
	s_delay_alu instid0(VALU_DEP_4)
	v_lshl_or_b32 v10, v10, 9, 0x7c00
	s_wait_alu 0xf1ff
	v_cndmask_b32_e64 v18, 0x7c00, v18, s0
	v_cmp_eq_u32_e64 s0, 0x40f, v21
	v_add_nc_u32_e32 v15, 0xfffffc10, v23
	s_wait_alu 0xf1ff
	s_delay_alu instid0(VALU_DEP_2) | instskip(SKIP_3) | instid1(VALU_DEP_4)
	v_cndmask_b32_e64 v6, v6, v8, s0
	v_lshrrev_b32_e32 v8, v22, v24
	v_cmp_eq_u32_e64 s0, 0x40f, v14
	v_and_or_b32 v0, 0x1ff, v1, v0
	v_and_or_b32 v17, 0x8000, v9, v6
	s_delay_alu instid0(VALU_DEP_4)
	v_lshlrev_b32_e32 v14, v22, v8
	s_wait_alu 0xf1ff
	v_cndmask_b32_e64 v10, v18, v10, s0
	v_lshrrev_b32_e32 v9, 8, v1
	v_and_b32_e32 v17, 0xffff, v17
	v_cmp_ne_u32_e64 s0, v14, v24
	v_bfe_u32 v14, v1, 20, 11
	v_and_or_b32 v10, 0x8000, v11, v10
	v_lshrrev_b32_e32 v1, 16, v1
	s_wait_alu 0xf1ff
	v_cndmask_b32_e64 v6, 0, 1, s0
	v_cmp_ne_u32_e64 s0, 0, v0
	v_lshl_or_b32 v17, v10, 16, v17
	s_delay_alu instid0(VALU_DEP_3) | instskip(SKIP_1) | instid1(VALU_DEP_3)
	v_or_b32_e32 v11, v8, v6
	s_wait_alu 0xf1ff
	v_cndmask_b32_e64 v0, 0, 1, s0
	v_sub_nc_u32_e32 v8, 0x3f1, v14
	v_cmp_gt_i32_e64 s0, 1, v15
	v_add_nc_u32_e32 v14, 0xfffffc10, v14
	s_delay_alu instid0(VALU_DEP_4)
	v_and_or_b32 v0, 0xffe, v9, v0
	v_cvt_f32_f16_e32 v9, v7
	v_med3_i32 v18, v8, 0, 13
	v_mul_f64_e32 v[6:7], s[10:11], v[12:13]
	v_lshl_or_b32 v12, v15, 12, v2
	v_or_b32_e32 v13, 0x1000, v0
	v_cvt_f64_f32_e32 v[8:9], v9
	s_wait_alu 0xf1ff
	s_delay_alu instid0(VALU_DEP_3)
	v_cndmask_b32_e64 v12, v12, v11, s0
	s_mul_u64 s[0:1], s[4:5], 0x3c8
	v_lshrrev_b32_e32 v21, v18, v13
	s_wait_alu 0xfffe
	s_lshl_b64 s[8:9], s[0:1], 2
	ds_load_2addr_b32 v[10:11], v16 offset0:32 offset1:208
	v_and_b32_e32 v22, 7, v12
	s_wait_alu 0xfffe
	v_add_co_u32 v4, s0, v4, s8
	s_wait_alu 0xf1ff
	v_add_co_ci_u32_e64 v5, s0, s9, v5, s0
	v_cmp_lt_i32_e64 s0, 5, v22
	v_cmp_eq_u32_e64 s1, 3, v22
	v_lshrrev_b32_e32 v12, 2, v12
	v_lshlrev_b32_e32 v18, v18, v21
	v_lshl_or_b32 v16, v14, 12, v0
	global_store_b32 v[4:5], v17, off
	s_or_b32 s0, s1, s0
	s_wait_alu 0xfffe
	v_add_co_ci_u32_e64 v12, s0, 0, v12, s0
	v_cmp_ne_u32_e64 s2, v18, v13
	v_cmp_ne_u32_e64 s0, 0, v2
	s_wait_dscnt 0x0
	v_lshrrev_b32_e32 v18, 16, v10
	s_wait_alu 0xf1ff
	v_cndmask_b32_e64 v13, 0, 1, s2
	v_cndmask_b32_e64 v2, 0, 1, s0
	v_cmp_gt_i32_e64 s0, 31, v15
	s_delay_alu instid0(VALU_DEP_3) | instskip(NEXT) | instid1(VALU_DEP_3)
	v_or_b32_e32 v13, v21, v13
	v_lshl_or_b32 v2, v2, 9, 0x7c00
	s_wait_alu 0xf1ff
	s_delay_alu instid0(VALU_DEP_3)
	v_cndmask_b32_e64 v12, 0x7c00, v12, s0
	v_cmp_gt_i32_e64 s0, 1, v14
	v_and_or_b32 v6, 0x1ff, v7, v6
	v_mul_f64_e32 v[8:9], s[10:11], v[8:9]
	v_bfe_u32 v21, v7, 20, 11
	s_wait_alu 0xf1ff
	v_cndmask_b32_e64 v16, v16, v13, s0
	v_cmp_eq_u32_e64 s0, 0x40f, v15
	v_mul_f16_e32 v13, v46, v18
	v_lshrrev_b32_e32 v15, 8, v7
	s_wait_alu 0xf1ff
	s_delay_alu instid0(VALU_DEP_3)
	v_cndmask_b32_e64 v2, v12, v2, s0
	v_cmp_ne_u32_e64 s0, 0, v6
	v_and_b32_e32 v12, 7, v16
	v_fmac_f16_e32 v13, v45, v10
	v_lshrrev_b32_e32 v16, 2, v16
	v_mul_f16_e32 v10, v46, v10
	s_wait_alu 0xf1ff
	v_cndmask_b32_e64 v6, 0, 1, s0
	v_cmp_lt_i32_e64 s0, 5, v12
	v_cvt_f32_f16_e32 v13, v13
	v_cmp_eq_u32_e64 s1, 3, v12
	v_and_or_b32 v24, 0x8000, v3, v2
	v_and_or_b32 v6, 0xffe, v15, v6
	v_sub_nc_u32_e32 v15, 0x3f1, v21
	v_cvt_f64_f32_e32 v[12:13], v13
	s_or_b32 s0, s1, s0
	v_fma_f16 v3, v45, v18, -v10
	s_wait_alu 0xfffe
	v_add_co_ci_u32_e64 v16, s0, 0, v16, s0
	v_or_b32_e32 v22, 0x1000, v6
	v_med3_i32 v15, v15, 0, 13
	v_cmp_ne_u32_e64 s0, 0, v0
	v_cvt_f32_f16_e32 v3, v3
	v_add_nc_u32_e32 v10, 0xfffffc10, v21
	s_delay_alu instid0(VALU_DEP_4) | instskip(SKIP_3) | instid1(VALU_DEP_3)
	v_lshrrev_b32_e32 v23, v15, v22
	s_wait_alu 0xf1ff
	v_cndmask_b32_e64 v0, 0, 1, s0
	v_cmp_gt_i32_e64 s0, 31, v14
	v_lshlrev_b32_e32 v2, v15, v23
	s_delay_alu instid0(VALU_DEP_3) | instskip(SKIP_1) | instid1(VALU_DEP_3)
	v_lshl_or_b32 v0, v0, 9, 0x7c00
	s_wait_alu 0xf1ff
	v_cndmask_b32_e64 v16, 0x7c00, v16, s0
	v_cmp_eq_u32_e64 s0, 0x40f, v14
	v_and_or_b32 v8, 0x1ff, v9, v8
	v_lshrrev_b32_e32 v18, 8, v9
	v_bfe_u32 v21, v9, 20, 11
	s_wait_alu 0xf1ff
	v_cndmask_b32_e64 v0, v16, v0, s0
	v_cmp_ne_u32_e64 s0, v2, v22
	v_lshl_or_b32 v16, v10, 12, v6
	s_delay_alu instid0(VALU_DEP_3) | instskip(SKIP_1) | instid1(VALU_DEP_3)
	v_and_or_b32 v14, 0x8000, v1, v0
	s_wait_alu 0xf1ff
	v_cndmask_b32_e64 v2, 0, 1, s0
	v_cmp_ne_u32_e64 s0, 0, v8
	v_cvt_f64_f32_e32 v[0:1], v3
	s_delay_alu instid0(VALU_DEP_3) | instskip(SKIP_1) | instid1(VALU_DEP_3)
	v_or_b32_e32 v15, v23, v2
	s_wait_alu 0xf1ff
	v_cndmask_b32_e64 v8, 0, 1, s0
	v_cmp_gt_i32_e64 s0, 1, v10
	v_add_nc_u32_e32 v2, 0x1400, v34
	v_mul_f64_e32 v[12:13], s[10:11], v[12:13]
	s_delay_alu instid0(VALU_DEP_4)
	v_and_or_b32 v8, 0xffe, v18, v8
	s_wait_alu 0xf1ff
	v_cndmask_b32_e64 v15, v16, v15, s0
	v_sub_nc_u32_e32 v16, 0x3f1, v21
	v_and_b32_e32 v18, 0xffff, v24
	ds_load_2addr_b32 v[2:3], v2 offset0:40 offset1:216
	v_or_b32_e32 v22, 0x1000, v8
	v_and_b32_e32 v23, 7, v15
	v_med3_i32 v16, v16, 0, 13
	s_movk_i32 s0, 0xfce8
	s_mov_b32 s1, -1
	v_lshl_or_b32 v17, v14, 16, v18
	s_wait_alu 0xfffe
	s_mul_u64 s[2:3], s[4:5], s[0:1]
	v_lshrrev_b32_e32 v14, v16, v22
	v_cmp_lt_i32_e64 s0, 5, v23
	v_cmp_eq_u32_e64 s1, 3, v23
	v_lshrrev_b32_e32 v15, 2, v15
	v_add_nc_u32_e32 v21, 0xfffffc10, v21
	v_lshlrev_b32_e32 v16, v16, v14
	s_wait_alu 0xfffe
	s_lshl_b64 s[12:13], s[2:3], 2
	s_or_b32 s0, s1, s0
	v_lshrrev_b32_e32 v24, 16, v7
	s_wait_alu 0xfffe
	v_add_co_ci_u32_e64 v15, s0, 0, v15, s0
	v_cmp_ne_u32_e64 s0, v16, v22
	s_wait_dscnt 0x0
	v_lshrrev_b32_e32 v18, 16, v2
	s_wait_alu 0xf1ff
	s_delay_alu instid0(VALU_DEP_2) | instskip(SKIP_3) | instid1(VALU_DEP_4)
	v_cndmask_b32_e64 v16, 0, 1, s0
	v_cmp_ne_u32_e64 s0, 0, v6
	v_mul_f64_e32 v[0:1], s[10:11], v[0:1]
	v_mul_f16_e32 v22, v44, v18
	v_or_b32_e32 v14, v14, v16
	s_wait_alu 0xf1ff
	v_cndmask_b32_e64 v6, 0, 1, s0
	v_cmp_gt_i32_e64 s0, 31, v10
	v_lshl_or_b32 v16, v21, 12, v8
	v_fmac_f16_e32 v22, v43, v2
	v_and_or_b32 v12, 0x1ff, v13, v12
	v_lshl_or_b32 v6, v6, 9, 0x7c00
	s_wait_alu 0xf1ff
	v_cndmask_b32_e64 v23, 0x7c00, v15, s0
	v_cmp_gt_i32_e64 s0, 1, v21
	v_cvt_f32_f16_e32 v15, v22
	v_lshrrev_b32_e32 v22, 8, v13
	v_mul_f16_e32 v2, v44, v2
	s_wait_alu 0xf1ff
	v_cndmask_b32_e64 v16, v16, v14, s0
	v_add_co_u32 v4, s0, v4, s12
	s_wait_alu 0xf1ff
	v_add_co_ci_u32_e64 v5, s0, s13, v5, s0
	v_cmp_eq_u32_e64 s0, 0x40f, v10
	v_cvt_f64_f32_e32 v[14:15], v15
	v_fma_f16 v2, v43, v18, -v2
	global_store_b32 v[4:5], v17, off
	s_wait_alu 0xf1ff
	v_cndmask_b32_e64 v10, v23, v6, s0
	v_cmp_ne_u32_e64 s0, 0, v12
	v_and_b32_e32 v6, 7, v16
	v_bfe_u32 v23, v13, 20, 11
	v_cvt_f32_f16_e32 v2, v2
	v_and_or_b32 v10, 0x8000, v24, v10
	s_wait_alu 0xf1ff
	v_cndmask_b32_e64 v12, 0, 1, s0
	v_cmp_lt_i32_e64 s0, 5, v6
	v_cmp_eq_u32_e64 s1, 3, v6
	v_lshrrev_b32_e32 v6, 2, v16
	v_sub_nc_u32_e32 v7, 0x3f1, v23
	v_and_or_b32 v12, 0xffe, v22, v12
	v_and_or_b32 v0, 0x1ff, v1, v0
	s_or_b32 s0, s1, s0
	v_bfe_u32 v26, v1, 20, 11
	s_wait_alu 0xfffe
	v_add_co_ci_u32_e64 v22, s0, 0, v6, s0
	v_or_b32_e32 v16, 0x1000, v12
	v_med3_i32 v18, v7, 0, 13
	v_cmp_gt_i32_e64 s0, 31, v21
	v_cvt_f64_f32_e32 v[6:7], v2
	v_and_b32_e32 v17, 0xffff, v10
	v_lshrrev_b32_e32 v13, 16, v13
	v_lshrrev_b32_e32 v25, v18, v16
	s_wait_alu 0xf1ff
	v_cndmask_b32_e64 v2, 0x7c00, v22, s0
	v_cmp_ne_u32_e64 s0, 0, v8
	v_lshrrev_b32_e32 v22, 8, v1
	v_lshrrev_b32_e32 v1, 16, v1
	v_lshlrev_b32_e32 v18, v18, v25
	s_wait_alu 0xf1ff
	v_cndmask_b32_e64 v8, 0, 1, s0
	v_cmp_ne_u32_e64 s0, 0, v0
	v_mul_f64_e32 v[14:15], s[10:11], v[14:15]
	s_delay_alu instid0(VALU_DEP_3) | instskip(SKIP_1) | instid1(VALU_DEP_3)
	v_lshl_or_b32 v8, v8, 9, 0x7c00
	s_wait_alu 0xf1ff
	v_cndmask_b32_e64 v0, 0, 1, s0
	v_cmp_ne_u32_e64 s0, v18, v16
	v_add_nc_u32_e32 v18, 0xfffffc10, v23
	s_delay_alu instid0(VALU_DEP_3) | instskip(SKIP_1) | instid1(VALU_DEP_3)
	v_and_or_b32 v0, 0xffe, v22, v0
	s_wait_alu 0xf1ff
	v_cndmask_b32_e64 v16, 0, 1, s0
	v_sub_nc_u32_e32 v22, 0x3f1, v26
	v_lshl_or_b32 v23, v18, 12, v12
	v_cmp_gt_i32_e64 s0, 1, v18
	s_delay_alu instid0(VALU_DEP_4) | instskip(SKIP_3) | instid1(VALU_DEP_3)
	v_or_b32_e32 v16, v25, v16
	v_or_b32_e32 v25, 0x1000, v0
	v_med3_i32 v22, v22, 0, 13
	s_wait_alu 0xf1ff
	v_cndmask_b32_e64 v16, v23, v16, s0
	v_cmp_eq_u32_e64 s0, 0x40f, v21
	s_delay_alu instid0(VALU_DEP_2) | instskip(SKIP_1) | instid1(VALU_DEP_2)
	v_and_b32_e32 v21, 7, v16
	s_wait_alu 0xf1ff
	v_cndmask_b32_e64 v2, v2, v8, s0
	v_lshrrev_b32_e32 v8, 16, v9
	v_lshrrev_b32_e32 v9, v22, v25
	;; [unrolled: 1-line block ×3, first 2 shown]
	v_cmp_lt_i32_e64 s0, 5, v21
	v_cmp_eq_u32_e64 s1, 3, v21
	v_and_or_b32 v2, 0x8000, v8, v2
	v_lshlrev_b32_e32 v8, v22, v9
	v_mul_f64_e32 v[6:7], s[10:11], v[6:7]
	v_add_nc_u32_e32 v16, 0xfffffc10, v26
	s_or_b32 s0, s1, s0
	v_lshrrev_b32_e32 v21, 16, v11
	v_cmp_ne_u32_e64 s2, v8, v25
	s_wait_alu 0xfffe
	v_add_co_ci_u32_e64 v10, s0, 0, v10, s0
	v_cmp_ne_u32_e64 s0, 0, v12
	v_lshrrev_b32_e32 v23, 8, v15
	s_wait_alu 0xf1ff
	v_cndmask_b32_e64 v8, 0, 1, s2
	v_bfe_u32 v24, v15, 20, 11
	v_lshl_or_b32 v17, v2, 16, v17
	v_cndmask_b32_e64 v12, 0, 1, s0
	v_cmp_gt_i32_e64 s0, 1, v16
	v_or_b32_e32 v8, v9, v8
	v_lshl_or_b32 v9, v16, 12, v0
	s_delay_alu instid0(VALU_DEP_4) | instskip(SKIP_1) | instid1(VALU_DEP_2)
	v_lshl_or_b32 v12, v12, 9, 0x7c00
	s_wait_alu 0xf1ff
	v_cndmask_b32_e64 v22, v9, v8, s0
	v_mul_f16_e32 v8, v42, v21
	v_and_or_b32 v9, 0x1ff, v15, v14
	v_cmp_gt_i32_e64 s0, 31, v18
	v_lshrrev_b32_e32 v15, 16, v15
	v_and_b32_e32 v14, 7, v22
	v_fmac_f16_e32 v8, v41, v11
	v_mul_f16_e32 v11, v42, v11
	s_wait_alu 0xf1ff
	v_cndmask_b32_e64 v10, 0x7c00, v10, s0
	v_cmp_ne_u32_e64 s0, 0, v9
	v_cmp_eq_u32_e64 s1, 3, v14
	v_cvt_f32_f16_e32 v8, v8
	v_fma_f16 v11, v41, v21, -v11
	v_add_nc_u32_e32 v21, 0xfffffc10, v24
	s_wait_alu 0xf1ff
	v_cndmask_b32_e64 v9, 0, 1, s0
	v_cmp_eq_u32_e64 s0, 0x40f, v18
	v_sub_nc_u32_e32 v18, 0x3f1, v24
	v_cvt_f32_f16_e32 v11, v11
	v_and_or_b32 v6, 0x1ff, v7, v6
	v_bfe_u32 v25, v7, 20, 11
	s_wait_alu 0xf1ff
	v_cndmask_b32_e64 v10, v10, v12, s0
	v_and_or_b32 v12, 0xffe, v23, v9
	v_cvt_f64_f32_e32 v[8:9], v8
	v_cmp_lt_i32_e64 s0, 5, v14
	v_lshrrev_b32_e32 v14, 2, v22
	v_med3_i32 v18, v18, 0, 13
	v_or_b32_e32 v22, 0x1000, v12
	v_and_or_b32 v13, 0x8000, v13, v10
	s_or_b32 s0, s1, s0
	v_lshl_or_b32 v24, v21, 12, v12
	s_wait_alu 0xfffe
	v_add_co_ci_u32_e64 v14, s0, 0, v14, s0
	v_cmp_gt_i32_e64 s0, 31, v16
	v_lshrrev_b32_e32 v23, v18, v22
	v_and_b32_e32 v13, 0xffff, v13
	s_wait_alu 0xf1ff
	s_delay_alu instid0(VALU_DEP_3) | instskip(SKIP_4) | instid1(VALU_DEP_3)
	v_cndmask_b32_e64 v14, 0x7c00, v14, s0
	v_cmp_ne_u32_e64 s0, 0, v6
	v_lshlrev_b32_e32 v10, v18, v23
	v_lshrrev_b32_e32 v18, 8, v7
	s_wait_alu 0xf1ff
	v_cndmask_b32_e64 v6, 0, 1, s0
	v_cmp_ne_u32_e64 s0, 0, v0
	s_delay_alu instid0(VALU_DEP_2) | instskip(SKIP_1) | instid1(VALU_DEP_2)
	v_and_or_b32 v6, 0xffe, v18, v6
	s_wait_alu 0xf1ff
	v_cndmask_b32_e64 v0, 0, 1, s0
	v_cmp_ne_u32_e64 s0, v10, v22
	v_sub_nc_u32_e32 v18, 0x3f1, v25
	v_or_b32_e32 v22, 0x1000, v6
	s_delay_alu instid0(VALU_DEP_4) | instskip(SKIP_4) | instid1(VALU_DEP_3)
	v_lshl_or_b32 v0, v0, 9, 0x7c00
	s_wait_alu 0xf1ff
	v_cndmask_b32_e64 v10, 0, 1, s0
	v_med3_i32 v18, v18, 0, 13
	v_cmp_eq_u32_e64 s0, 0x40f, v16
	v_or_b32_e32 v23, v23, v10
	v_cvt_f64_f32_e32 v[10:11], v11
	v_mul_f64_e32 v[8:9], s[10:11], v[8:9]
	v_lshrrev_b32_e32 v26, v18, v22
	s_wait_alu 0xf1ff
	v_cndmask_b32_e64 v0, v14, v0, s0
	v_cmp_gt_i32_e64 s0, 1, v21
	s_delay_alu instid0(VALU_DEP_3) | instskip(NEXT) | instid1(VALU_DEP_3)
	v_lshlrev_b32_e32 v16, v18, v26
	v_and_or_b32 v2, 0x8000, v1, v0
	s_wait_alu 0xf1ff
	s_delay_alu instid0(VALU_DEP_3) | instskip(NEXT) | instid1(VALU_DEP_3)
	v_cndmask_b32_e64 v14, v24, v23, s0
	v_cmp_ne_u32_e64 s0, v16, v22
	v_add_nc_u32_e32 v22, 0xfffffc10, v25
	s_delay_alu instid0(VALU_DEP_3)
	v_and_b32_e32 v18, 7, v14
	v_lshl_or_b32 v23, v2, 16, v13
	s_wait_alu 0xf1ff
	v_cndmask_b32_e64 v16, 0, 1, s0
	v_add_co_u32 v0, s0, v4, s8
	s_wait_alu 0xf1ff
	v_add_co_ci_u32_e64 v1, s0, s9, v5, s0
	s_delay_alu instid0(VALU_DEP_3)
	v_or_b32_e32 v2, v26, v16
	v_lshrrev_b32_e32 v16, 16, v3
	v_cmp_lt_i32_e64 s0, 5, v18
	v_cmp_eq_u32_e64 s1, 3, v18
	v_lshl_or_b32 v4, v22, 12, v6
	v_lshrrev_b32_e32 v5, 2, v14
	v_cmp_gt_i32_e64 s2, 1, v22
	v_mul_f16_e32 v13, v40, v16
	s_or_b32 s0, s1, s0
	s_wait_alu 0xfffe
	v_add_co_ci_u32_e64 v14, s0, 0, v5, s0
	v_cndmask_b32_e64 v2, v4, v2, s2
	v_fmac_f16_e32 v13, v39, v3
	v_cmp_ne_u32_e64 s0, 0, v12
	v_mul_f64_e32 v[4:5], s[10:11], v[10:11]
	v_and_or_b32 v8, 0x1ff, v9, v8
	s_delay_alu instid0(VALU_DEP_4)
	v_cvt_f32_f16_e32 v10, v13
	s_wait_alu 0xf1ff
	v_cndmask_b32_e64 v12, 0, 1, s0
	v_and_b32_e32 v18, 7, v2
	v_cmp_gt_i32_e64 s0, 31, v21
	v_cmp_ne_u32_e64 s2, 0, v8
	v_cvt_f64_f32_e32 v[10:11], v10
	v_lshl_or_b32 v12, v12, 9, 0x7c00
	v_cmp_eq_u32_e64 s1, 3, v18
	s_wait_alu 0xf1ff
	v_cndmask_b32_e64 v14, 0x7c00, v14, s0
	v_cmp_lt_i32_e64 s0, 5, v18
	v_cndmask_b32_e64 v8, 0, 1, s2
	v_lshrrev_b32_e32 v13, 8, v9
	v_bfe_u32 v18, v9, 20, 11
	v_cmp_eq_u32_e64 s2, 0x40f, v21
	v_lshrrev_b32_e32 v2, 2, v2
	s_or_b32 s0, s1, s0
	v_and_or_b32 v8, 0xffe, v13, v8
	v_lshrrev_b32_e32 v9, 16, v9
	v_cndmask_b32_e64 v14, v14, v12, s2
	v_sub_nc_u32_e32 v12, 0x3f1, v18
	s_wait_alu 0xfffe
	v_add_co_ci_u32_e64 v2, s0, 0, v2, s0
	v_cmp_ne_u32_e64 s0, 0, v6
	v_or_b32_e32 v21, 0x1000, v8
	v_med3_i32 v24, v12, 0, 13
	v_and_or_b32 v14, 0x8000, v15, v14
	s_wait_alu 0xf1ff
	v_cndmask_b32_e64 v6, 0, 1, s0
	v_cmp_gt_i32_e64 s0, 31, v22
	v_lshrrev_b32_e32 v25, v24, v21
	v_and_b32_e32 v14, 0xffff, v14
	s_delay_alu instid0(VALU_DEP_4)
	v_lshl_or_b32 v6, v6, 9, 0x7c00
	s_wait_alu 0xf1ff
	v_cndmask_b32_e64 v2, 0x7c00, v2, s0
	v_add_co_u32 v12, s0, v0, s12
	s_wait_alu 0xf1ff
	v_add_co_ci_u32_e64 v13, s0, s13, v1, s0
	v_lshlrev_b32_e32 v15, v24, v25
	v_cmp_eq_u32_e64 s0, 0x40f, v22
	v_bfe_u32 v24, v5, 20, 11
	s_wait_alu 0xf1ff
	s_delay_alu instid0(VALU_DEP_2)
	v_cndmask_b32_e64 v22, v2, v6, s0
	v_and_or_b32 v2, 0x1ff, v5, v4
	v_cmp_ne_u32_e64 s0, v15, v21
	v_lshrrev_b32_e32 v4, 16, v7
	v_mul_f16_e32 v7, v40, v3
	v_lshrrev_b32_e32 v21, 8, v5
	v_lshrrev_b32_e32 v5, 16, v5
	s_wait_alu 0xf1ff
	v_cndmask_b32_e64 v6, 0, 1, s0
	v_cmp_ne_u32_e64 s0, 0, v2
	v_mul_f64_e32 v[2:3], s[10:11], v[10:11]
	v_fma_f16 v7, v39, v16, -v7
	v_add_nc_u32_e32 v16, 0xfffffc10, v18
	v_or_b32_e32 v10, v25, v6
	s_wait_alu 0xf1ff
	v_cndmask_b32_e64 v15, 0, 1, s0
	v_sub_nc_u32_e32 v6, 0x3f1, v24
	ds_load_b32 v18, v34 offset:2816
	v_cvt_f32_f16_e32 v7, v7
	v_lshl_or_b32 v11, v16, 12, v8
	v_and_or_b32 v15, 0xffe, v21, v15
	v_med3_i32 v25, v6, 0, 13
	v_cmp_gt_i32_e64 s0, 1, v16
	v_cvt_f64_f32_e32 v[6:7], v7
	v_and_or_b32 v4, 0x8000, v4, v22
	v_or_b32_e32 v21, 0x1000, v15
	s_clause 0x1
	global_store_b32 v[0:1], v17, off
	global_store_b32 v[12:13], v23, off
	s_wait_alu 0xf1ff
	v_cndmask_b32_e64 v22, v11, v10, s0
	v_add_co_u32 v10, s0, v12, s8
	v_lshrrev_b32_e32 v26, v25, v21
	v_lshl_or_b32 v14, v4, 16, v14
	s_delay_alu instid0(VALU_DEP_4)
	v_and_b32_e32 v0, 7, v22
	s_wait_alu 0xf1ff
	v_add_co_ci_u32_e64 v11, s0, s9, v13, s0
	v_lshlrev_b32_e32 v1, v25, v26
	v_add_nc_u32_e32 v13, 0xfffffc10, v24
	s_wait_dscnt 0x0
	v_lshrrev_b32_e32 v4, 16, v18
	v_cmp_lt_i32_e64 s0, 5, v0
	v_cmp_eq_u32_e64 s2, 0x40f, v16
	v_cmp_ne_u32_e64 s1, v1, v21
	v_lshl_or_b32 v21, v13, 12, v15
	v_mul_f16_e32 v17, v38, v4
	ds_load_b32 v12, v34 offset:6688
	s_wait_alu 0xf1ff
	v_cndmask_b32_e64 v1, 0, 1, s1
	v_cmp_eq_u32_e64 s1, 3, v0
	v_lshrrev_b32_e32 v0, 2, v22
	v_fmac_f16_e32 v17, v37, v18
	v_and_or_b32 v2, 0x1ff, v3, v2
	v_or_b32_e32 v1, v26, v1
	s_or_b32 s0, s1, s0
	v_bfe_u32 v23, v3, 20, 11
	s_wait_alu 0xfffe
	v_add_co_ci_u32_e64 v22, s0, 0, v0, s0
	v_cmp_gt_i32_e64 s0, 1, v13
	v_cvt_f32_f16_e32 v0, v17
	s_wait_alu 0xf1ff
	s_delay_alu instid0(VALU_DEP_2) | instskip(SKIP_1) | instid1(VALU_DEP_3)
	v_cndmask_b32_e64 v17, v21, v1, s0
	v_cmp_ne_u32_e64 s0, 0, v2
	v_cvt_f64_f32_e32 v[0:1], v0
	v_lshrrev_b32_e32 v21, 8, v3
	v_mul_f64_e32 v[6:7], s[10:11], v[6:7]
	v_and_b32_e32 v24, 7, v17
	s_wait_alu 0xf1ff
	v_cndmask_b32_e64 v2, 0, 1, s0
	v_cmp_ne_u32_e64 s0, 0, v8
	v_lshrrev_b32_e32 v17, 2, v17
	v_cmp_eq_u32_e64 s1, 3, v24
	s_delay_alu instid0(VALU_DEP_4)
	v_and_or_b32 v2, 0xffe, v21, v2
	s_wait_alu 0xf1ff
	v_cndmask_b32_e64 v8, 0, 1, s0
	v_cmp_gt_i32_e64 s0, 31, v16
	v_sub_nc_u32_e32 v21, 0x3f1, v23
	v_or_b32_e32 v25, 0x1000, v2
	s_delay_alu instid0(VALU_DEP_4) | instskip(SKIP_4) | instid1(VALU_DEP_3)
	v_lshl_or_b32 v8, v8, 9, 0x7c00
	s_wait_alu 0xf1ff
	v_cndmask_b32_e64 v22, 0x7c00, v22, s0
	v_cmp_lt_i32_e64 s0, 5, v24
	v_med3_i32 v21, v21, 0, 13
	v_cndmask_b32_e64 v8, v22, v8, s2
	s_delay_alu instid0(VALU_DEP_3) | instskip(NEXT) | instid1(VALU_DEP_2)
	s_or_b32 s0, s1, s0
	v_lshrrev_b32_e32 v16, v21, v25
	s_wait_alu 0xfffe
	v_add_co_ci_u32_e64 v17, s0, 0, v17, s0
	v_cmp_ne_u32_e64 s0, 0, v15
	v_and_or_b32 v8, 0x8000, v9, v8
	v_lshlrev_b32_e32 v21, v21, v16
	v_add_nc_u32_e32 v22, 0xfffffc10, v23
	s_wait_alu 0xf1ff
	v_cndmask_b32_e64 v15, 0, 1, s0
	v_cmp_gt_i32_e64 s0, 31, v13
	v_and_b32_e32 v8, 0xffff, v8
	s_delay_alu instid0(VALU_DEP_3) | instskip(SKIP_1) | instid1(VALU_DEP_3)
	v_lshl_or_b32 v15, v15, 9, 0x7c00
	s_wait_alu 0xf1ff
	v_cndmask_b32_e64 v17, 0x7c00, v17, s0
	v_cmp_ne_u32_e64 s0, v21, v25
	v_mul_f64_e32 v[0:1], s[10:11], v[0:1]
	v_and_or_b32 v6, 0x1ff, v7, v6
	s_wait_alu 0xf1ff
	s_delay_alu instid0(VALU_DEP_3) | instskip(SKIP_1) | instid1(VALU_DEP_2)
	v_cndmask_b32_e64 v21, 0, 1, s0
	v_cmp_eq_u32_e64 s0, 0x40f, v13
	v_or_b32_e32 v13, v16, v21
	s_wait_alu 0xf1ff
	s_delay_alu instid0(VALU_DEP_2)
	v_cndmask_b32_e64 v9, v17, v15, s0
	v_mul_f16_e32 v15, v38, v18
	v_lshl_or_b32 v16, v22, 12, v2
	v_cmp_gt_i32_e64 s0, 1, v22
	s_wait_dscnt 0x0
	v_lshrrev_b32_e32 v18, 16, v12
	v_and_or_b32 v9, 0x8000, v5, v9
	v_fma_f16 v4, v37, v4, -v15
	v_lshrrev_b32_e32 v15, 8, v7
	s_wait_alu 0xf1ff
	v_cndmask_b32_e64 v13, v16, v13, s0
	v_cmp_ne_u32_e64 s0, 0, v6
	v_bfe_u32 v16, v7, 20, 11
	v_cvt_f32_f16_e32 v4, v4
	v_mul_f16_e32 v23, v36, v18
	v_and_b32_e32 v17, 7, v13
	s_wait_alu 0xf1ff
	v_cndmask_b32_e64 v6, 0, 1, s0
	v_cvt_f64_f32_e32 v[4:5], v4
	v_fmac_f16_e32 v23, v35, v12
	v_cmp_lt_i32_e64 s0, 5, v17
	s_delay_alu instid0(VALU_DEP_4)
	v_and_or_b32 v6, 0xffe, v15, v6
	v_sub_nc_u32_e32 v15, 0x3f1, v16
	v_cmp_eq_u32_e64 s1, 3, v17
	v_lshl_or_b32 v17, v9, 16, v8
	v_lshrrev_b32_e32 v8, 2, v13
	v_or_b32_e32 v21, 0x1000, v6
	v_med3_i32 v15, v15, 0, 13
	s_or_b32 s0, s1, s0
	v_cvt_f32_f16_e32 v9, v23
	s_wait_alu 0xfffe
	v_add_co_ci_u32_e64 v8, s0, 0, v8, s0
	v_lshrrev_b32_e32 v13, v15, v21
	v_cmp_ne_u32_e64 s0, 0, v2
	v_and_or_b32 v0, 0x1ff, v1, v0
	v_add_nc_u32_e32 v16, 0xfffffc10, v16
	v_mul_f16_e32 v12, v36, v12
	v_lshlrev_b32_e32 v15, v15, v13
	s_wait_alu 0xf1ff
	v_cndmask_b32_e64 v2, 0, 1, s0
	v_cmp_gt_i32_e64 s0, 31, v22
	v_fma_f16 v12, v35, v18, -v12
	v_lshl_or_b32 v18, v16, 12, v6
	s_delay_alu instid0(VALU_DEP_4)
	v_lshl_or_b32 v2, v2, 9, 0x7c00
	s_wait_alu 0xf1ff
	v_cndmask_b32_e64 v23, 0x7c00, v8, s0
	v_cvt_f64_f32_e32 v[8:9], v9
	v_cmp_ne_u32_e64 s0, v15, v21
	v_lshrrev_b32_e32 v21, 8, v1
	v_cvt_f32_f16_e32 v12, v12
	s_wait_alu 0xf1ff
	s_delay_alu instid0(VALU_DEP_3) | instskip(SKIP_1) | instid1(VALU_DEP_2)
	v_cndmask_b32_e64 v15, 0, 1, s0
	v_cmp_ne_u32_e64 s0, 0, v0
	v_or_b32_e32 v13, v13, v15
	s_wait_alu 0xf1ff
	s_delay_alu instid0(VALU_DEP_2)
	v_cndmask_b32_e64 v0, 0, 1, s0
	v_bfe_u32 v15, v1, 20, 11
	v_cmp_gt_i32_e64 s0, 1, v16
	v_mul_f64_e32 v[4:5], s[10:11], v[4:5]
	v_lshrrev_b32_e32 v1, 16, v1
	v_and_or_b32 v0, 0xffe, v21, v0
	v_sub_nc_u32_e32 v21, 0x3f1, v15
	s_wait_alu 0xf1ff
	v_cndmask_b32_e64 v18, v18, v13, s0
	v_cmp_eq_u32_e64 s0, 0x40f, v22
	v_cvt_f64_f32_e32 v[12:13], v12
	v_or_b32_e32 v24, 0x1000, v0
	v_med3_i32 v21, v21, 0, 13
	v_and_b32_e32 v25, 7, v18
	s_wait_alu 0xf1ff
	v_cndmask_b32_e64 v22, v23, v2, s0
	v_add_co_u32 v2, s0, v10, s12
	v_lshrrev_b32_e32 v26, v21, v24
	v_lshrrev_b32_e32 v23, 16, v3
	s_wait_alu 0xf1ff
	v_add_co_ci_u32_e64 v3, s0, s13, v11, s0
	v_cmp_lt_i32_e64 s0, 5, v25
	v_cmp_eq_u32_e64 s1, 3, v25
	v_lshrrev_b32_e32 v18, 2, v18
	v_lshlrev_b32_e32 v21, v21, v26
	v_add_nc_u32_e32 v15, 0xfffffc10, v15
	v_and_or_b32 v22, 0x8000, v23, v22
	s_or_b32 s0, s1, s0
	v_mul_f64_e32 v[8:9], s[10:11], v[8:9]
	s_wait_alu 0xfffe
	v_add_co_ci_u32_e64 v18, s0, 0, v18, s0
	v_cmp_ne_u32_e64 s2, v21, v24
	v_cmp_ne_u32_e64 s0, 0, v6
	v_lshl_or_b32 v23, v15, 12, v0
	s_wait_alu 0xf1ff
	s_delay_alu instid0(VALU_DEP_3) | instskip(NEXT) | instid1(VALU_DEP_3)
	v_cndmask_b32_e64 v21, 0, 1, s2
	v_cndmask_b32_e64 v6, 0, 1, s0
	v_cmp_gt_i32_e64 s0, 31, v16
	s_delay_alu instid0(VALU_DEP_3) | instskip(NEXT) | instid1(VALU_DEP_3)
	v_or_b32_e32 v21, v26, v21
	v_lshl_or_b32 v6, v6, 9, 0x7c00
	s_wait_alu 0xf1ff
	s_delay_alu instid0(VALU_DEP_3) | instskip(SKIP_4) | instid1(VALU_DEP_3)
	v_cndmask_b32_e64 v18, 0x7c00, v18, s0
	v_cmp_gt_i32_e64 s0, 1, v15
	v_and_or_b32 v4, 0x1ff, v5, v4
	v_lshrrev_b32_e32 v24, 8, v5
	s_wait_alu 0xf1ff
	v_cndmask_b32_e64 v21, v23, v21, s0
	v_cmp_eq_u32_e64 s0, 0x40f, v16
	s_delay_alu instid0(VALU_DEP_2) | instskip(SKIP_1) | instid1(VALU_DEP_2)
	v_and_b32_e32 v23, 7, v21
	s_wait_alu 0xf1ff
	v_cndmask_b32_e64 v16, v18, v6, s0
	v_lshrrev_b32_e32 v18, 16, v7
	v_cmp_ne_u32_e64 s0, 0, v4
	v_mul_f64_e32 v[6:7], s[10:11], v[12:13]
	v_bfe_u32 v12, v5, 20, 11
	v_cmp_eq_u32_e64 s1, 3, v23
	v_and_or_b32 v13, 0x8000, v18, v16
	v_and_b32_e32 v16, 0xffff, v22
	s_wait_alu 0xf1ff
	v_cndmask_b32_e64 v4, 0, 1, s0
	v_cmp_lt_i32_e64 s0, 5, v23
	v_sub_nc_u32_e32 v18, 0x3f1, v12
	v_and_or_b32 v8, 0x1ff, v9, v8
	v_lshl_or_b32 v13, v13, 16, v16
	v_lshrrev_b32_e32 v16, 2, v21
	v_and_or_b32 v4, 0xffe, v24, v4
	s_or_b32 s0, s1, s0
	v_med3_i32 v18, v18, 0, 13
	v_lshrrev_b32_e32 v23, 8, v9
	s_wait_alu 0xfffe
	v_add_co_ci_u32_e64 v16, s0, 0, v16, s0
	v_or_b32_e32 v21, 0x1000, v4
	v_cmp_ne_u32_e64 s0, 0, v0
	v_bfe_u32 v24, v9, 20, 11
	v_add_nc_u32_e32 v12, 0xfffffc10, v12
	v_lshrrev_b32_e32 v5, 16, v5
	v_lshrrev_b32_e32 v22, v18, v21
	s_wait_alu 0xf1ff
	v_cndmask_b32_e64 v0, 0, 1, s0
	v_cmp_gt_i32_e64 s0, 31, v15
	v_lshrrev_b32_e32 v9, 16, v9
	v_lshlrev_b32_e32 v18, v18, v22
	s_delay_alu instid0(VALU_DEP_4) | instskip(SKIP_4) | instid1(VALU_DEP_1)
	v_lshl_or_b32 v0, v0, 9, 0x7c00
	s_wait_alu 0xf1ff
	v_cndmask_b32_e64 v16, 0x7c00, v16, s0
	v_cmp_ne_u32_e64 s0, 0, v8
	s_wait_alu 0xf1ff
	v_cndmask_b32_e64 v8, 0, 1, s0
	v_cmp_ne_u32_e64 s0, v18, v21
	v_sub_nc_u32_e32 v21, 0x3f1, v24
	v_and_or_b32 v6, 0x1ff, v7, v6
	s_delay_alu instid0(VALU_DEP_4)
	v_and_or_b32 v8, 0xffe, v23, v8
	s_wait_alu 0xf1ff
	v_cndmask_b32_e64 v18, 0, 1, s0
	v_cmp_eq_u32_e64 s0, 0x40f, v15
	v_med3_i32 v21, v21, 0, 13
	v_bfe_u32 v23, v7, 20, 11
	s_delay_alu instid0(VALU_DEP_4)
	v_or_b32_e32 v15, v22, v18
	s_wait_alu 0xf1ff
	v_cndmask_b32_e64 v0, v16, v0, s0
	v_lshl_or_b32 v16, v12, 12, v4
	v_or_b32_e32 v18, 0x1000, v8
	v_cmp_gt_i32_e64 s0, 1, v12
	v_lshrrev_b32_e32 v22, 8, v7
	v_and_or_b32 v0, 0x8000, v1, v0
	s_wait_alu 0xf1ff
	s_delay_alu instid0(VALU_DEP_3) | instskip(SKIP_3) | instid1(VALU_DEP_4)
	v_cndmask_b32_e64 v15, v16, v15, s0
	v_lshrrev_b32_e32 v16, v21, v18
	v_cmp_ne_u32_e64 s0, 0, v6
	v_and_b32_e32 v0, 0xffff, v0
	v_and_b32_e32 v25, 7, v15
	s_delay_alu instid0(VALU_DEP_4)
	v_lshlrev_b32_e32 v21, v21, v16
	s_wait_alu 0xf1ff
	v_cndmask_b32_e64 v6, 0, 1, s0
	v_lshrrev_b32_e32 v15, 2, v15
	v_cmp_lt_i32_e64 s0, 5, v25
	v_cmp_ne_u32_e64 s1, v21, v18
	s_delay_alu instid0(VALU_DEP_4)
	v_and_or_b32 v1, 0xffe, v22, v6
	v_sub_nc_u32_e32 v6, 0x3f1, v23
	v_add_nc_u32_e32 v22, 0xfffffc10, v24
	s_wait_alu 0xf1ff
	v_cndmask_b32_e64 v18, 0, 1, s1
	v_cmp_eq_u32_e64 s1, 3, v25
	v_or_b32_e32 v21, 0x1000, v1
	v_med3_i32 v6, v6, 0, 13
	v_lshl_or_b32 v24, v22, 12, v8
	v_or_b32_e32 v16, v16, v18
	s_or_b32 s0, s1, s0
	s_wait_alu 0xfffe
	v_add_co_ci_u32_e64 v15, s0, 0, v15, s0
	v_lshrrev_b32_e32 v18, v6, v21
	v_cmp_gt_i32_e64 s0, 1, v22
	s_delay_alu instid0(VALU_DEP_2) | instskip(SKIP_1) | instid1(VALU_DEP_2)
	v_lshlrev_b32_e32 v6, v6, v18
	s_wait_alu 0xf1ff
	v_cndmask_b32_e64 v16, v24, v16, s0
	v_cmp_ne_u32_e64 s0, 0, v4
	s_wait_alu 0xf1ff
	s_delay_alu instid0(VALU_DEP_1) | instskip(SKIP_3) | instid1(VALU_DEP_4)
	v_cndmask_b32_e64 v4, 0, 1, s0
	v_cmp_ne_u32_e64 s0, v6, v21
	v_add_nc_u32_e32 v21, 0xfffffc10, v23
	v_and_b32_e32 v23, 7, v16
	v_lshl_or_b32 v4, v4, 9, 0x7c00
	s_wait_alu 0xf1ff
	v_cndmask_b32_e64 v6, 0, 1, s0
	v_cmp_gt_i32_e64 s0, 31, v12
	v_cmp_gt_i32_e64 s2, 1, v21
	v_cmp_eq_u32_e64 s1, 3, v23
	s_delay_alu instid0(VALU_DEP_4) | instskip(SKIP_4) | instid1(VALU_DEP_3)
	v_or_b32_e32 v6, v18, v6
	v_lshl_or_b32 v18, v21, 12, v1
	s_wait_alu 0xf1ff
	v_cndmask_b32_e64 v15, 0x7c00, v15, s0
	v_cmp_lt_i32_e64 s0, 5, v23
	v_cndmask_b32_e64 v6, v18, v6, s2
	v_cmp_eq_u32_e64 s2, 0x40f, v12
	v_lshrrev_b32_e32 v12, 2, v16
	s_delay_alu instid0(VALU_DEP_4) | instskip(NEXT) | instid1(VALU_DEP_2)
	s_or_b32 s0, s1, s0
	v_cndmask_b32_e64 v4, v15, v4, s2
	s_wait_alu 0xfffe
	s_delay_alu instid0(VALU_DEP_2) | instskip(SKIP_4) | instid1(VALU_DEP_4)
	v_add_co_ci_u32_e64 v12, s0, 0, v12, s0
	v_and_b32_e32 v15, 7, v6
	v_cmp_ne_u32_e64 s0, 0, v8
	v_lshrrev_b32_e32 v6, 2, v6
	v_cmp_gt_i32_e64 s2, 31, v22
	v_cmp_eq_u32_e64 s1, 3, v15
	s_wait_alu 0xf1ff
	v_cndmask_b32_e64 v8, 0, 1, s0
	v_cmp_lt_i32_e64 s0, 5, v15
	v_cndmask_b32_e64 v12, 0x7c00, v12, s2
	s_delay_alu instid0(VALU_DEP_3) | instskip(NEXT) | instid1(VALU_DEP_3)
	v_lshl_or_b32 v8, v8, 9, 0x7c00
	s_or_b32 s0, s1, s0
	s_wait_alu 0xfffe
	v_add_co_ci_u32_e64 v6, s0, 0, v6, s0
	v_cmp_ne_u32_e64 s0, 0, v1
	s_wait_alu 0xf1ff
	s_delay_alu instid0(VALU_DEP_1) | instskip(SKIP_1) | instid1(VALU_DEP_2)
	v_cndmask_b32_e64 v1, 0, 1, s0
	v_cmp_eq_u32_e64 s0, 0x40f, v22
	v_lshl_or_b32 v1, v1, 9, 0x7c00
	s_wait_alu 0xf1ff
	s_delay_alu instid0(VALU_DEP_2) | instskip(SKIP_2) | instid1(VALU_DEP_3)
	v_cndmask_b32_e64 v8, v12, v8, s0
	v_cmp_gt_i32_e64 s0, 31, v21
	v_and_or_b32 v12, 0x8000, v5, v4
	v_and_or_b32 v8, 0x8000, v9, v8
	s_wait_alu 0xf1ff
	s_delay_alu instid0(VALU_DEP_3) | instskip(SKIP_3) | instid1(VALU_DEP_2)
	v_cndmask_b32_e64 v6, 0x7c00, v6, s0
	v_cmp_eq_u32_e64 s0, 0x40f, v21
	v_lshl_or_b32 v9, v12, 16, v0
	s_wait_alu 0xf1ff
	v_cndmask_b32_e64 v1, v6, v1, s0
	v_lshrrev_b32_e32 v6, 16, v7
	v_add_co_u32 v4, s0, v2, s8
	s_wait_alu 0xf1ff
	v_add_co_ci_u32_e64 v5, s0, s9, v3, s0
	s_delay_alu instid0(VALU_DEP_3) | instskip(SKIP_4) | instid1(VALU_DEP_3)
	v_and_or_b32 v0, 0x8000, v6, v1
	v_and_b32_e32 v1, 0xffff, v8
	v_add_co_u32 v6, s0, v4, s12
	s_wait_alu 0xf1ff
	v_add_co_ci_u32_e64 v7, s0, s13, v5, s0
	v_lshl_or_b32 v8, v0, 16, v1
	s_delay_alu instid0(VALU_DEP_3) | instskip(SKIP_1) | instid1(VALU_DEP_3)
	v_add_co_u32 v0, s0, v6, s8
	s_wait_alu 0xf1ff
	v_add_co_ci_u32_e64 v1, s0, s9, v7, s0
	global_store_b32 v[10:11], v14, off
	global_store_b32 v[2:3], v17, off
	;; [unrolled: 1-line block ×5, first 2 shown]
	s_and_b32 exec_lo, exec_lo, vcc_lo
	s_cbranch_execz .LBB0_31
; %bb.30:
	s_clause 0x1
	global_load_b32 v2, v[19:20], off offset:3520
	global_load_b32 v4, v[19:20], off offset:7392
	ds_load_b32 v3, v34 offset:3520
	ds_load_b32 v5, v34 offset:7392
	s_wait_dscnt 0x1
	v_lshrrev_b32_e32 v6, 16, v3
	s_wait_dscnt 0x0
	v_lshrrev_b32_e32 v9, 16, v5
	s_wait_loadcnt 0x1
	v_lshrrev_b32_e32 v7, 16, v2
	s_wait_loadcnt 0x0
	v_lshrrev_b32_e32 v10, 16, v4
	s_delay_alu instid0(VALU_DEP_2) | instskip(SKIP_1) | instid1(VALU_DEP_3)
	v_mul_f16_e32 v8, v6, v7
	v_mul_f16_e32 v7, v3, v7
	;; [unrolled: 1-line block ×3, first 2 shown]
	s_delay_alu instid0(VALU_DEP_3) | instskip(NEXT) | instid1(VALU_DEP_3)
	v_fmac_f16_e32 v8, v3, v2
	v_fma_f16 v2, v2, v6, -v7
	v_mul_f16_e32 v6, v5, v10
	s_delay_alu instid0(VALU_DEP_4) | instskip(NEXT) | instid1(VALU_DEP_4)
	v_fmac_f16_e32 v11, v5, v4
	v_cvt_f32_f16_e32 v3, v8
	s_delay_alu instid0(VALU_DEP_4) | instskip(NEXT) | instid1(VALU_DEP_4)
	v_cvt_f32_f16_e32 v5, v2
	v_fma_f16 v6, v4, v9, -v6
	s_delay_alu instid0(VALU_DEP_4) | instskip(NEXT) | instid1(VALU_DEP_4)
	v_cvt_f32_f16_e32 v7, v11
	v_cvt_f64_f32_e32 v[2:3], v3
	s_delay_alu instid0(VALU_DEP_4) | instskip(NEXT) | instid1(VALU_DEP_4)
	v_cvt_f64_f32_e32 v[4:5], v5
	v_cvt_f32_f16_e32 v8, v6
	s_delay_alu instid0(VALU_DEP_4) | instskip(NEXT) | instid1(VALU_DEP_2)
	v_cvt_f64_f32_e32 v[6:7], v7
	v_cvt_f64_f32_e32 v[8:9], v8
	v_mul_f64_e32 v[2:3], s[10:11], v[2:3]
	v_mul_f64_e32 v[4:5], s[10:11], v[4:5]
	s_delay_alu instid0(VALU_DEP_4) | instskip(NEXT) | instid1(VALU_DEP_4)
	v_mul_f64_e32 v[6:7], s[10:11], v[6:7]
	v_mul_f64_e32 v[8:9], s[10:11], v[8:9]
	s_delay_alu instid0(VALU_DEP_4) | instskip(NEXT) | instid1(VALU_DEP_4)
	v_and_or_b32 v2, 0x1ff, v3, v2
	v_and_or_b32 v4, 0x1ff, v5, v4
	v_lshrrev_b32_e32 v10, 8, v3
	v_and_or_b32 v6, 0x1ff, v7, v6
	v_bfe_u32 v11, v3, 20, 11
	v_cmp_ne_u32_e32 vcc_lo, 0, v2
	v_lshrrev_b32_e32 v12, 8, v5
	v_and_or_b32 v8, 0x1ff, v9, v8
	v_bfe_u32 v13, v5, 20, 11
	v_lshrrev_b32_e32 v14, 8, v7
	s_wait_alu 0xfffd
	v_cndmask_b32_e64 v2, 0, 1, vcc_lo
	v_cmp_ne_u32_e32 vcc_lo, 0, v4
	v_bfe_u32 v15, v7, 20, 11
	v_bfe_u32 v17, v9, 20, 11
	v_sub_nc_u32_e32 v18, 0x3f1, v11
	v_and_or_b32 v2, 0xffe, v10, v2
	s_wait_alu 0xfffd
	v_cndmask_b32_e64 v4, 0, 1, vcc_lo
	v_cmp_ne_u32_e32 vcc_lo, 0, v6
	v_add_nc_u32_e32 v11, 0xfffffc10, v11
	v_sub_nc_u32_e32 v19, 0x3f1, v13
	v_lshrrev_b32_e32 v16, 8, v9
	v_and_or_b32 v4, 0xffe, v12, v4
	s_wait_alu 0xfffd
	v_cndmask_b32_e64 v6, 0, 1, vcc_lo
	v_cmp_ne_u32_e32 vcc_lo, 0, v8
	v_add_nc_u32_e32 v13, 0xfffffc10, v13
	v_sub_nc_u32_e32 v20, 0x3f1, v15
	v_sub_nc_u32_e32 v21, 0x3f1, v17
	v_med3_i32 v10, v18, 0, 13
	s_wait_alu 0xfffd
	v_cndmask_b32_e64 v8, 0, 1, vcc_lo
	v_cmp_ne_u32_e32 vcc_lo, 0, v2
	v_med3_i32 v12, v19, 0, 13
	v_and_or_b32 v6, 0xffe, v14, v6
	v_or_b32_e32 v18, 0x1000, v2
	v_lshl_or_b32 v19, v11, 12, v2
	s_wait_alu 0xfffd
	v_cndmask_b32_e64 v2, 0, 1, vcc_lo
	v_cmp_ne_u32_e32 vcc_lo, 0, v4
	v_add_nc_u32_e32 v15, 0xfffffc10, v15
	v_med3_i32 v14, v20, 0, 13
	v_and_or_b32 v8, 0xffe, v16, v8
	v_med3_i32 v16, v21, 0, 13
	v_or_b32_e32 v20, 0x1000, v4
	v_lshl_or_b32 v21, v13, 12, v4
	s_wait_alu 0xfffd
	v_cndmask_b32_e64 v4, 0, 1, vcc_lo
	v_cmp_ne_u32_e32 vcc_lo, 0, v6
	v_lshrrev_b32_e32 v26, v10, v18
	v_add_nc_u32_e32 v17, 0xfffffc10, v17
	v_or_b32_e32 v22, 0x1000, v6
	v_lshl_or_b32 v23, v15, 12, v6
	s_wait_alu 0xfffd
	v_cndmask_b32_e64 v6, 0, 1, vcc_lo
	v_cmp_ne_u32_e32 vcc_lo, 0, v8
	v_lshrrev_b32_e32 v27, v12, v20
	v_lshlrev_b32_e32 v10, v10, v26
	v_or_b32_e32 v24, 0x1000, v8
	v_lshl_or_b32 v25, v17, 12, v8
	s_wait_alu 0xfffd
	v_cndmask_b32_e64 v8, 0, 1, vcc_lo
	v_lshrrev_b32_e32 v28, v14, v22
	v_lshlrev_b32_e32 v12, v12, v27
	v_cmp_ne_u32_e32 vcc_lo, v10, v18
	v_lshrrev_b32_e32 v29, v16, v24
	v_lshl_or_b32 v2, v2, 9, 0x7c00
	v_lshlrev_b32_e32 v14, v14, v28
	v_lshl_or_b32 v6, v6, 9, 0x7c00
	s_wait_alu 0xfffd
	v_cndmask_b32_e64 v10, 0, 1, vcc_lo
	v_cmp_ne_u32_e32 vcc_lo, v12, v20
	v_lshlrev_b32_e32 v16, v16, v29
	v_lshl_or_b32 v4, v4, 9, 0x7c00
	v_lshrrev_b32_e32 v3, 16, v3
	v_or_b32_e32 v10, v26, v10
	s_wait_alu 0xfffd
	v_cndmask_b32_e64 v12, 0, 1, vcc_lo
	v_cmp_ne_u32_e32 vcc_lo, v14, v22
	v_lshrrev_b32_e32 v7, 16, v7
	v_lshl_or_b32 v8, v8, 9, 0x7c00
	v_lshrrev_b32_e32 v5, 16, v5
	v_or_b32_e32 v12, v27, v12
	s_wait_alu 0xfffd
	v_cndmask_b32_e64 v14, 0, 1, vcc_lo
	v_cmp_ne_u32_e32 vcc_lo, v16, v24
	v_lshrrev_b32_e32 v9, 16, v9
	s_delay_alu instid0(VALU_DEP_3) | instskip(SKIP_3) | instid1(VALU_DEP_2)
	v_or_b32_e32 v14, v28, v14
	s_wait_alu 0xfffd
	v_cndmask_b32_e64 v16, 0, 1, vcc_lo
	v_cmp_gt_i32_e32 vcc_lo, 1, v11
	v_or_b32_e32 v16, v29, v16
	s_wait_alu 0xfffd
	v_cndmask_b32_e32 v10, v19, v10, vcc_lo
	v_cmp_gt_i32_e32 vcc_lo, 1, v13
	s_delay_alu instid0(VALU_DEP_2)
	v_and_b32_e32 v18, 7, v10
	s_wait_alu 0xfffd
	v_cndmask_b32_e32 v12, v21, v12, vcc_lo
	v_cmp_gt_i32_e32 vcc_lo, 1, v15
	v_lshrrev_b32_e32 v10, 2, v10
	v_cmp_eq_u32_e64 s0, 3, v18
	s_wait_alu 0xfffd
	v_cndmask_b32_e32 v14, v23, v14, vcc_lo
	v_cmp_gt_i32_e32 vcc_lo, 1, v17
	s_delay_alu instid0(VALU_DEP_2)
	v_and_b32_e32 v20, 7, v14
	s_wait_alu 0xfffd
	v_cndmask_b32_e32 v16, v25, v16, vcc_lo
	v_cmp_lt_i32_e32 vcc_lo, 5, v18
	v_lshrrev_b32_e32 v14, 2, v14
	v_cmp_lt_i32_e64 s3, 5, v20
	v_cmp_eq_u32_e64 s4, 3, v20
	s_or_b32 vcc_lo, s0, vcc_lo
	s_wait_alu 0xfffe
	v_add_co_ci_u32_e32 v10, vcc_lo, 0, v10, vcc_lo
	v_and_b32_e32 v19, 7, v12
	v_lshrrev_b32_e32 v12, 2, v12
	s_delay_alu instid0(VALU_DEP_2) | instskip(SKIP_1) | instid1(VALU_DEP_1)
	v_cmp_lt_i32_e64 s1, 5, v19
	v_cmp_eq_u32_e64 s2, 3, v19
	s_or_b32 vcc_lo, s2, s1
	s_wait_alu 0xfffe
	v_add_co_ci_u32_e32 v12, vcc_lo, 0, v12, vcc_lo
	s_or_b32 vcc_lo, s4, s3
	s_wait_alu 0xfffe
	v_add_co_ci_u32_e32 v14, vcc_lo, 0, v14, vcc_lo
	v_and_b32_e32 v21, 7, v16
	v_lshrrev_b32_e32 v16, 2, v16
	s_delay_alu instid0(VALU_DEP_2) | instskip(SKIP_1) | instid1(VALU_DEP_1)
	v_cmp_lt_i32_e64 s5, 5, v21
	v_cmp_eq_u32_e64 s6, 3, v21
	s_or_b32 vcc_lo, s6, s5
	s_wait_alu 0xfffe
	v_add_co_ci_u32_e32 v16, vcc_lo, 0, v16, vcc_lo
	v_cmp_gt_i32_e32 vcc_lo, 31, v11
	s_wait_alu 0xfffd
	v_cndmask_b32_e32 v10, 0x7c00, v10, vcc_lo
	v_cmp_gt_i32_e32 vcc_lo, 31, v13
	s_wait_alu 0xfffd
	v_cndmask_b32_e32 v12, 0x7c00, v12, vcc_lo
	;; [unrolled: 3-line block ×4, first 2 shown]
	v_cmp_eq_u32_e32 vcc_lo, 0x40f, v11
	s_wait_alu 0xfffd
	v_cndmask_b32_e32 v2, v10, v2, vcc_lo
	v_cmp_eq_u32_e32 vcc_lo, 0x40f, v15
	s_delay_alu instid0(VALU_DEP_2) | instskip(SKIP_3) | instid1(VALU_DEP_2)
	v_and_or_b32 v2, 0x8000, v3, v2
	s_wait_alu 0xfffd
	v_cndmask_b32_e32 v6, v14, v6, vcc_lo
	v_cmp_eq_u32_e32 vcc_lo, 0x40f, v13
	v_and_or_b32 v3, 0x8000, v7, v6
	s_wait_alu 0xfffd
	v_cndmask_b32_e32 v4, v12, v4, vcc_lo
	v_cmp_eq_u32_e32 vcc_lo, 0x40f, v17
	v_and_b32_e32 v6, 0xffff, v2
	v_and_b32_e32 v7, 0xffff, v3
	s_delay_alu instid0(VALU_DEP_4)
	v_and_or_b32 v4, 0x8000, v5, v4
	s_wait_alu 0xfffd
	v_cndmask_b32_e32 v8, v16, v8, vcc_lo
	v_add_co_u32 v0, vcc_lo, v0, s12
	s_wait_alu 0xfffd
	v_add_co_ci_u32_e32 v1, vcc_lo, s13, v1, vcc_lo
	s_delay_alu instid0(VALU_DEP_3) | instskip(NEXT) | instid1(VALU_DEP_3)
	v_and_or_b32 v5, 0x8000, v9, v8
	v_add_co_u32 v2, vcc_lo, v0, s8
	v_lshl_or_b32 v4, v4, 16, v6
	s_wait_alu 0xfffd
	v_add_co_ci_u32_e32 v3, vcc_lo, s9, v1, vcc_lo
	v_lshl_or_b32 v5, v5, 16, v7
	global_store_b32 v[0:1], v4, off
	global_store_b32 v[2:3], v5, off
.LBB0_31:
	s_nop 0
	s_sendmsg sendmsg(MSG_DEALLOC_VGPRS)
	s_endpgm
	.section	.rodata,"a",@progbits
	.p2align	6, 0x0
	.amdhsa_kernel bluestein_single_back_len1936_dim1_half_op_CI_CI
		.amdhsa_group_segment_fixed_size 7744
		.amdhsa_private_segment_fixed_size 0
		.amdhsa_kernarg_size 104
		.amdhsa_user_sgpr_count 2
		.amdhsa_user_sgpr_dispatch_ptr 0
		.amdhsa_user_sgpr_queue_ptr 0
		.amdhsa_user_sgpr_kernarg_segment_ptr 1
		.amdhsa_user_sgpr_dispatch_id 0
		.amdhsa_user_sgpr_private_segment_size 0
		.amdhsa_wavefront_size32 1
		.amdhsa_uses_dynamic_stack 0
		.amdhsa_enable_private_segment 0
		.amdhsa_system_sgpr_workgroup_id_x 1
		.amdhsa_system_sgpr_workgroup_id_y 0
		.amdhsa_system_sgpr_workgroup_id_z 0
		.amdhsa_system_sgpr_workgroup_info 0
		.amdhsa_system_vgpr_workitem_id 0
		.amdhsa_next_free_vgpr 216
		.amdhsa_next_free_sgpr 18
		.amdhsa_reserve_vcc 1
		.amdhsa_float_round_mode_32 0
		.amdhsa_float_round_mode_16_64 0
		.amdhsa_float_denorm_mode_32 3
		.amdhsa_float_denorm_mode_16_64 3
		.amdhsa_fp16_overflow 0
		.amdhsa_workgroup_processor_mode 1
		.amdhsa_memory_ordered 1
		.amdhsa_forward_progress 0
		.amdhsa_round_robin_scheduling 0
		.amdhsa_exception_fp_ieee_invalid_op 0
		.amdhsa_exception_fp_denorm_src 0
		.amdhsa_exception_fp_ieee_div_zero 0
		.amdhsa_exception_fp_ieee_overflow 0
		.amdhsa_exception_fp_ieee_underflow 0
		.amdhsa_exception_fp_ieee_inexact 0
		.amdhsa_exception_int_div_zero 0
	.end_amdhsa_kernel
	.text
.Lfunc_end0:
	.size	bluestein_single_back_len1936_dim1_half_op_CI_CI, .Lfunc_end0-bluestein_single_back_len1936_dim1_half_op_CI_CI
                                        ; -- End function
	.section	.AMDGPU.csdata,"",@progbits
; Kernel info:
; codeLenInByte = 26408
; NumSgprs: 20
; NumVgprs: 216
; ScratchSize: 0
; MemoryBound: 0
; FloatMode: 240
; IeeeMode: 1
; LDSByteSize: 7744 bytes/workgroup (compile time only)
; SGPRBlocks: 2
; VGPRBlocks: 26
; NumSGPRsForWavesPerEU: 20
; NumVGPRsForWavesPerEU: 216
; Occupancy: 7
; WaveLimiterHint : 1
; COMPUTE_PGM_RSRC2:SCRATCH_EN: 0
; COMPUTE_PGM_RSRC2:USER_SGPR: 2
; COMPUTE_PGM_RSRC2:TRAP_HANDLER: 0
; COMPUTE_PGM_RSRC2:TGID_X_EN: 1
; COMPUTE_PGM_RSRC2:TGID_Y_EN: 0
; COMPUTE_PGM_RSRC2:TGID_Z_EN: 0
; COMPUTE_PGM_RSRC2:TIDIG_COMP_CNT: 0
	.text
	.p2alignl 7, 3214868480
	.fill 96, 4, 3214868480
	.type	__hip_cuid_d26d77d1c1f20e4e,@object ; @__hip_cuid_d26d77d1c1f20e4e
	.section	.bss,"aw",@nobits
	.globl	__hip_cuid_d26d77d1c1f20e4e
__hip_cuid_d26d77d1c1f20e4e:
	.byte	0                               ; 0x0
	.size	__hip_cuid_d26d77d1c1f20e4e, 1

	.ident	"AMD clang version 19.0.0git (https://github.com/RadeonOpenCompute/llvm-project roc-6.4.0 25133 c7fe45cf4b819c5991fe208aaa96edf142730f1d)"
	.section	".note.GNU-stack","",@progbits
	.addrsig
	.addrsig_sym __hip_cuid_d26d77d1c1f20e4e
	.amdgpu_metadata
---
amdhsa.kernels:
  - .args:
      - .actual_access:  read_only
        .address_space:  global
        .offset:         0
        .size:           8
        .value_kind:     global_buffer
      - .actual_access:  read_only
        .address_space:  global
        .offset:         8
        .size:           8
        .value_kind:     global_buffer
      - .actual_access:  read_only
        .address_space:  global
        .offset:         16
        .size:           8
        .value_kind:     global_buffer
      - .actual_access:  read_only
        .address_space:  global
        .offset:         24
        .size:           8
        .value_kind:     global_buffer
      - .actual_access:  read_only
        .address_space:  global
        .offset:         32
        .size:           8
        .value_kind:     global_buffer
      - .offset:         40
        .size:           8
        .value_kind:     by_value
      - .address_space:  global
        .offset:         48
        .size:           8
        .value_kind:     global_buffer
      - .address_space:  global
        .offset:         56
        .size:           8
        .value_kind:     global_buffer
      - .address_space:  global
        .offset:         64
        .size:           8
        .value_kind:     global_buffer
      - .address_space:  global
        .offset:         72
        .size:           8
        .value_kind:     global_buffer
      - .offset:         80
        .size:           4
        .value_kind:     by_value
      - .address_space:  global
        .offset:         88
        .size:           8
        .value_kind:     global_buffer
      - .address_space:  global
        .offset:         96
        .size:           8
        .value_kind:     global_buffer
    .group_segment_fixed_size: 7744
    .kernarg_segment_align: 8
    .kernarg_segment_size: 104
    .language:       OpenCL C
    .language_version:
      - 2
      - 0
    .max_flat_workgroup_size: 176
    .name:           bluestein_single_back_len1936_dim1_half_op_CI_CI
    .private_segment_fixed_size: 0
    .sgpr_count:     20
    .sgpr_spill_count: 0
    .symbol:         bluestein_single_back_len1936_dim1_half_op_CI_CI.kd
    .uniform_work_group_size: 1
    .uses_dynamic_stack: false
    .vgpr_count:     216
    .vgpr_spill_count: 0
    .wavefront_size: 32
    .workgroup_processor_mode: 1
amdhsa.target:   amdgcn-amd-amdhsa--gfx1201
amdhsa.version:
  - 1
  - 2
...

	.end_amdgpu_metadata
